;; amdgpu-corpus repo=ROCm/rocFFT kind=compiled arch=gfx90a opt=O3
	.text
	.amdgcn_target "amdgcn-amd-amdhsa--gfx90a"
	.amdhsa_code_object_version 6
	.protected	bluestein_single_fwd_len1925_dim1_dp_op_CI_CI ; -- Begin function bluestein_single_fwd_len1925_dim1_dp_op_CI_CI
	.globl	bluestein_single_fwd_len1925_dim1_dp_op_CI_CI
	.p2align	8
	.type	bluestein_single_fwd_len1925_dim1_dp_op_CI_CI,@function
bluestein_single_fwd_len1925_dim1_dp_op_CI_CI: ; @bluestein_single_fwd_len1925_dim1_dp_op_CI_CI
; %bb.0:
	s_load_dwordx4 s[12:15], s[4:5], 0x28
	s_mov_b64 s[46:47], s[2:3]
	s_mov_b64 s[44:45], s[0:1]
	v_mul_u32_u24_e32 v1, 0x4a8, v0
	s_add_u32 s44, s44, s7
	v_add_u32_sdwa v4, s6, v1 dst_sel:DWORD dst_unused:UNUSED_PAD src0_sel:DWORD src1_sel:WORD_1
	v_mov_b32_e32 v5, 0
	s_addc_u32 s45, s45, 0
	s_waitcnt lgkmcnt(0)
	v_cmp_gt_u64_e32 vcc, s[12:13], v[4:5]
	s_and_saveexec_b64 s[0:1], vcc
	s_cbranch_execz .LBB0_10
; %bb.1:
	s_load_dwordx4 s[8:11], s[4:5], 0x0
	s_load_dwordx4 s[16:19], s[4:5], 0x18
	s_load_dwordx2 s[12:13], s[4:5], 0x38
	v_mov_b32_e32 v2, 55
	v_mul_lo_u16_sdwa v1, v1, v2 dst_sel:DWORD dst_unused:UNUSED_PAD src0_sel:WORD_1 src1_sel:DWORD
	v_sub_u16_e32 v176, v0, v1
	s_waitcnt lgkmcnt(0)
	s_load_dwordx4 s[0:3], s[16:17], 0x0
	s_load_dwordx4 s[4:7], s[18:19], 0x0
	v_accvgpr_write_b32 a146, v4
	v_lshlrev_b32_e32 v196, 4, v176
	global_load_dwordx4 v[10:13], v196, s[8:9]
	s_waitcnt lgkmcnt(0)
	v_mad_u64_u32 v[0:1], s[16:17], s2, v4, 0
	v_mov_b32_e32 v2, v1
	v_mad_u64_u32 v[2:3], s[2:3], s3, v4, v[2:3]
	v_mov_b32_e32 v1, v2
	;; [unrolled: 2-line block ×3, first 2 shown]
	v_mad_u64_u32 v[4:5], s[2:3], s1, v176, v[4:5]
	v_lshlrev_b64 v[0:1], 4, v[0:1]
	v_mov_b32_e32 v3, v4
	v_add_co_u32_e32 v4, vcc, s14, v0
	v_mov_b32_e32 v0, s15
	v_addc_co_u32_e32 v5, vcc, v0, v1, vcc
	v_lshlrev_b64 v[0:1], 4, v[2:3]
	v_add_co_u32_e32 v0, vcc, v4, v0
	v_addc_co_u32_e32 v1, vcc, v5, v1, vcc
	global_load_dwordx4 v[4:7], v[0:1], off
	v_mov_b32_e32 v18, 0x1130
	v_add_co_u32_e32 v2, vcc, s8, v196
	v_mov_b32_e32 v3, s9
	v_mad_u64_u32 v[0:1], s[2:3], s0, v18, v[0:1]
	v_addc_co_u32_e32 v3, vcc, 0, v3, vcc
	s_movk_i32 s3, 0x1000
	s_mul_i32 s2, s1, 0x1130
	v_add_u32_e32 v1, s2, v1
	s_mulk_i32 s1, 0x9c50
	s_sub_i32 s1, s1, s0
	s_mov_b32 s26, 0x37e14327
	s_mov_b32 s28, 0xe976ee23
	;; [unrolled: 1-line block ×14, first 2 shown]
	v_accvgpr_write_b32 a44, v176
	s_waitcnt vmcnt(0)
	v_mul_f64 v[8:9], v[6:7], v[12:13]
	v_fmac_f64_e32 v[8:9], v[4:5], v[10:11]
	v_mul_f64 v[4:5], v[4:5], v[12:13]
	buffer_store_dword v10, off, s[44:47], 0 offset:284 ; 4-byte Folded Spill
	s_nop 0
	buffer_store_dword v11, off, s[44:47], 0 offset:288 ; 4-byte Folded Spill
	buffer_store_dword v12, off, s[44:47], 0 offset:292 ; 4-byte Folded Spill
	buffer_store_dword v13, off, s[44:47], 0 offset:296 ; 4-byte Folded Spill
	v_fma_f64 v[10:11], v[6:7], v[10:11], -v[4:5]
	v_add_co_u32_e32 v4, vcc, s3, v2
	v_addc_co_u32_e32 v5, vcc, 0, v3, vcc
	ds_write_b128 v196, v[8:11]
	global_load_dwordx4 v[6:9], v[0:1], off
	global_load_dwordx4 v[12:15], v[4:5], off offset:304
	s_movk_i32 s3, 0x2000
	s_waitcnt vmcnt(0)
	v_mul_f64 v[10:11], v[8:9], v[14:15]
	v_fmac_f64_e32 v[10:11], v[6:7], v[12:13]
	v_mul_f64 v[6:7], v[6:7], v[14:15]
	buffer_store_dword v12, off, s[44:47], 0 ; 4-byte Folded Spill
	s_nop 0
	buffer_store_dword v13, off, s[44:47], 0 offset:4 ; 4-byte Folded Spill
	buffer_store_dword v14, off, s[44:47], 0 offset:8 ; 4-byte Folded Spill
	;; [unrolled: 1-line block ×3, first 2 shown]
	v_mad_u64_u32 v[14:15], s[14:15], s0, v18, v[0:1]
	v_add_co_u32_e32 v0, vcc, s3, v2
	v_add_u32_e32 v15, s2, v15
	v_addc_co_u32_e32 v1, vcc, 0, v3, vcc
	global_load_dwordx4 v[20:23], v[0:1], off offset:608
	s_movk_i32 s3, 0x3000
	v_mad_u64_u32 v[16:17], s[14:15], s0, v18, v[14:15]
	v_add_u32_e32 v17, s2, v17
	v_fma_f64 v[12:13], v[8:9], v[12:13], -v[6:7]
	global_load_dwordx4 v[6:9], v[14:15], off
	ds_write_b128 v196, v[10:13] offset:4400
	s_waitcnt vmcnt(0)
	v_mul_f64 v[10:11], v[8:9], v[22:23]
	v_fmac_f64_e32 v[10:11], v[6:7], v[20:21]
	v_mul_f64 v[6:7], v[6:7], v[22:23]
	buffer_store_dword v20, off, s[44:47], 0 offset:16 ; 4-byte Folded Spill
	s_nop 0
	buffer_store_dword v21, off, s[44:47], 0 offset:20 ; 4-byte Folded Spill
	buffer_store_dword v22, off, s[44:47], 0 offset:24 ; 4-byte Folded Spill
	;; [unrolled: 1-line block ×3, first 2 shown]
	v_fma_f64 v[12:13], v[8:9], v[20:21], -v[6:7]
	ds_write_b128 v196, v[10:13] offset:8800
	v_add_co_u32_e32 v10, vcc, s3, v2
	v_addc_co_u32_e32 v11, vcc, 0, v3, vcc
	global_load_dwordx4 v[6:9], v[16:17], off
	global_load_dwordx4 v[20:23], v[10:11], off offset:912
	s_movk_i32 s3, 0x4000
	s_waitcnt vmcnt(0)
	v_mul_f64 v[12:13], v[8:9], v[22:23]
	v_fmac_f64_e32 v[12:13], v[6:7], v[20:21]
	v_mul_f64 v[6:7], v[6:7], v[22:23]
	buffer_store_dword v20, off, s[44:47], 0 offset:32 ; 4-byte Folded Spill
	s_nop 0
	buffer_store_dword v21, off, s[44:47], 0 offset:36 ; 4-byte Folded Spill
	buffer_store_dword v22, off, s[44:47], 0 offset:40 ; 4-byte Folded Spill
	;; [unrolled: 1-line block ×3, first 2 shown]
	v_fma_f64 v[14:15], v[8:9], v[20:21], -v[6:7]
	v_mad_u64_u32 v[8:9], s[14:15], s0, v18, v[16:17]
	v_add_co_u32_e32 v6, vcc, s3, v2
	v_add_u32_e32 v9, s2, v9
	v_addc_co_u32_e32 v7, vcc, 0, v3, vcc
	ds_write_b128 v196, v[12:15] offset:13200
	global_load_dwordx4 v[12:15], v[8:9], off
	global_load_dwordx4 v[22:25], v[6:7], off offset:1216
	s_movk_i32 s3, 0x5000
	v_mad_u64_u32 v[8:9], s[14:15], s0, v18, v[8:9]
	v_add_u32_e32 v9, s2, v9
	s_waitcnt vmcnt(0)
	v_mul_f64 v[20:21], v[14:15], v[24:25]
	v_fmac_f64_e32 v[20:21], v[12:13], v[22:23]
	v_mul_f64 v[12:13], v[12:13], v[24:25]
	buffer_store_dword v22, off, s[44:47], 0 offset:48 ; 4-byte Folded Spill
	s_nop 0
	buffer_store_dword v23, off, s[44:47], 0 offset:52 ; 4-byte Folded Spill
	buffer_store_dword v24, off, s[44:47], 0 offset:56 ; 4-byte Folded Spill
	;; [unrolled: 1-line block ×3, first 2 shown]
	v_fma_f64 v[22:23], v[14:15], v[22:23], -v[12:13]
	v_add_co_u32_e32 v12, vcc, s3, v2
	v_addc_co_u32_e32 v13, vcc, 0, v3, vcc
	ds_write_b128 v196, v[20:23] offset:17600
	global_load_dwordx4 v[14:17], v[8:9], off
	global_load_dwordx4 v[22:25], v[12:13], off offset:1520
	s_movk_i32 s3, 0x6000
	s_waitcnt vmcnt(0)
	v_mul_f64 v[20:21], v[16:17], v[24:25]
	v_fmac_f64_e32 v[20:21], v[14:15], v[22:23]
	v_mul_f64 v[14:15], v[14:15], v[24:25]
	buffer_store_dword v22, off, s[44:47], 0 offset:64 ; 4-byte Folded Spill
	s_nop 0
	buffer_store_dword v23, off, s[44:47], 0 offset:68 ; 4-byte Folded Spill
	buffer_store_dword v24, off, s[44:47], 0 offset:72 ; 4-byte Folded Spill
	;; [unrolled: 1-line block ×3, first 2 shown]
	v_mad_u64_u32 v[24:25], s[14:15], s0, v18, v[8:9]
	v_add_co_u32_e32 v8, vcc, s3, v2
	v_add_u32_e32 v25, s2, v25
	v_addc_co_u32_e32 v9, vcc, 0, v3, vcc
	global_load_dwordx4 v[26:29], v[8:9], off offset:1824
	v_add_co_u32_e32 v194, vcc, 55, v176
	s_movk_i32 s3, 0x6e
	v_fma_f64 v[22:23], v[16:17], v[22:23], -v[14:15]
	global_load_dwordx4 v[14:17], v[24:25], off
	ds_write_b128 v196, v[20:23] offset:22000
	s_waitcnt vmcnt(0)
	v_mul_f64 v[20:21], v[16:17], v[28:29]
	v_fmac_f64_e32 v[20:21], v[14:15], v[26:27]
	v_mul_f64 v[14:15], v[14:15], v[28:29]
	buffer_store_dword v26, off, s[44:47], 0 offset:80 ; 4-byte Folded Spill
	s_nop 0
	buffer_store_dword v27, off, s[44:47], 0 offset:84 ; 4-byte Folded Spill
	buffer_store_dword v28, off, s[44:47], 0 offset:88 ; 4-byte Folded Spill
	;; [unrolled: 1-line block ×3, first 2 shown]
	v_fma_f64 v[22:23], v[16:17], v[26:27], -v[14:15]
	v_addc_co_u32_e64 v14, s[14:15], 0, 0, vcc
	v_mov_b32_e32 v16, 0xffff9c50
	v_accvgpr_write_b32 a0, v14
	v_mad_u64_u32 v[14:15], s[14:15], s0, v16, v[24:25]
	ds_write_b128 v196, v[20:23] offset:26400
	v_add_u32_e32 v15, s1, v15
	global_load_dwordx4 v[20:23], v[14:15], off
	global_load_dwordx4 v[26:29], v196, s[8:9] offset:880
	v_mad_u64_u32 v[14:15], s[14:15], s0, v18, v[14:15]
	v_add_u32_e32 v15, s2, v15
	v_add_co_u32_e32 v162, vcc, s3, v176
	s_movk_i32 s3, 0xa5
	v_add_co_u32_e32 v178, vcc, s3, v176
	s_movk_i32 s3, 0x7000
	v_accvgpr_write_b32 a102, v162
	s_waitcnt vmcnt(0)
	v_mul_f64 v[24:25], v[22:23], v[28:29]
	v_fmac_f64_e32 v[24:25], v[20:21], v[26:27]
	v_mul_f64 v[20:21], v[20:21], v[28:29]
	buffer_store_dword v26, off, s[44:47], 0 offset:100 ; 4-byte Folded Spill
	s_nop 0
	buffer_store_dword v27, off, s[44:47], 0 offset:104 ; 4-byte Folded Spill
	buffer_store_dword v28, off, s[44:47], 0 offset:108 ; 4-byte Folded Spill
	buffer_store_dword v29, off, s[44:47], 0 offset:112 ; 4-byte Folded Spill
	v_fma_f64 v[26:27], v[22:23], v[26:27], -v[20:21]
	ds_write_b128 v196, v[24:27] offset:880
	global_load_dwordx4 v[20:23], v[14:15], off
	global_load_dwordx4 v[26:29], v[4:5], off offset:1184
	v_mad_u64_u32 v[14:15], s[14:15], s0, v18, v[14:15]
	v_add_u32_e32 v15, s2, v15
	s_waitcnt vmcnt(0)
	v_mul_f64 v[24:25], v[22:23], v[28:29]
	v_fmac_f64_e32 v[24:25], v[20:21], v[26:27]
	v_mul_f64 v[20:21], v[20:21], v[28:29]
	buffer_store_dword v26, off, s[44:47], 0 offset:116 ; 4-byte Folded Spill
	s_nop 0
	buffer_store_dword v27, off, s[44:47], 0 offset:120 ; 4-byte Folded Spill
	buffer_store_dword v28, off, s[44:47], 0 offset:124 ; 4-byte Folded Spill
	buffer_store_dword v29, off, s[44:47], 0 offset:128 ; 4-byte Folded Spill
	v_fma_f64 v[26:27], v[22:23], v[26:27], -v[20:21]
	ds_write_b128 v196, v[24:27] offset:5280
	global_load_dwordx4 v[20:23], v[14:15], off
	global_load_dwordx4 v[26:29], v[0:1], off offset:1488
	v_mad_u64_u32 v[14:15], s[14:15], s0, v18, v[14:15]
	v_add_u32_e32 v15, s2, v15
	;; [unrolled: 15-line block ×6, first 2 shown]
	s_waitcnt vmcnt(0)
	v_mul_f64 v[24:25], v[22:23], v[28:29]
	v_fmac_f64_e32 v[24:25], v[20:21], v[26:27]
	v_mul_f64 v[20:21], v[20:21], v[28:29]
	buffer_store_dword v26, off, s[44:47], 0 offset:196 ; 4-byte Folded Spill
	s_nop 0
	buffer_store_dword v27, off, s[44:47], 0 offset:200 ; 4-byte Folded Spill
	buffer_store_dword v28, off, s[44:47], 0 offset:204 ; 4-byte Folded Spill
	;; [unrolled: 1-line block ×3, first 2 shown]
	v_fma_f64 v[26:27], v[22:23], v[26:27], -v[20:21]
	ds_write_b128 v196, v[24:27] offset:27280
	global_load_dwordx4 v[20:23], v[14:15], off
	global_load_dwordx4 v[26:29], v196, s[8:9] offset:1760
	v_mad_u64_u32 v[14:15], s[14:15], s0, v18, v[14:15]
	v_add_u32_e32 v15, s2, v15
	s_waitcnt vmcnt(0)
	v_mul_f64 v[24:25], v[22:23], v[28:29]
	v_fmac_f64_e32 v[24:25], v[20:21], v[26:27]
	v_mul_f64 v[20:21], v[20:21], v[28:29]
	buffer_store_dword v26, off, s[44:47], 0 offset:220 ; 4-byte Folded Spill
	s_nop 0
	buffer_store_dword v27, off, s[44:47], 0 offset:224 ; 4-byte Folded Spill
	buffer_store_dword v28, off, s[44:47], 0 offset:228 ; 4-byte Folded Spill
	buffer_store_dword v29, off, s[44:47], 0 offset:232 ; 4-byte Folded Spill
	v_fma_f64 v[26:27], v[22:23], v[26:27], -v[20:21]
	ds_write_b128 v196, v[24:27] offset:1760
	global_load_dwordx4 v[20:23], v[14:15], off
	global_load_dwordx4 v[26:29], v[4:5], off offset:2064
	v_mad_u64_u32 v[14:15], s[14:15], s0, v18, v[14:15]
	v_add_u32_e32 v15, s2, v15
	s_waitcnt vmcnt(0)
	v_mul_f64 v[24:25], v[22:23], v[28:29]
	v_fmac_f64_e32 v[24:25], v[20:21], v[26:27]
	v_mul_f64 v[20:21], v[20:21], v[28:29]
	buffer_store_dword v26, off, s[44:47], 0 offset:236 ; 4-byte Folded Spill
	s_nop 0
	buffer_store_dword v27, off, s[44:47], 0 offset:240 ; 4-byte Folded Spill
	buffer_store_dword v28, off, s[44:47], 0 offset:244 ; 4-byte Folded Spill
	buffer_store_dword v29, off, s[44:47], 0 offset:248 ; 4-byte Folded Spill
	v_fma_f64 v[26:27], v[22:23], v[26:27], -v[20:21]
	ds_write_b128 v196, v[24:27] offset:6160
	global_load_dwordx4 v[20:23], v[14:15], off
	global_load_dwordx4 v[26:29], v[0:1], off offset:2368
	;; [unrolled: 15-line block ×6, first 2 shown]
	v_mad_u64_u32 v[14:15], s[14:15], s0, v16, v[14:15]
	v_add_u32_e32 v15, s1, v15
	s_waitcnt vmcnt(0)
	v_mul_f64 v[24:25], v[22:23], v[28:29]
	v_fmac_f64_e32 v[24:25], v[20:21], v[26:27]
	v_mul_f64 v[20:21], v[20:21], v[28:29]
	buffer_store_dword v26, off, s[44:47], 0 offset:332 ; 4-byte Folded Spill
	s_nop 0
	buffer_store_dword v27, off, s[44:47], 0 offset:336 ; 4-byte Folded Spill
	buffer_store_dword v28, off, s[44:47], 0 offset:340 ; 4-byte Folded Spill
	;; [unrolled: 1-line block ×3, first 2 shown]
	v_fma_f64 v[26:27], v[22:23], v[26:27], -v[20:21]
	ds_write_b128 v196, v[24:27] offset:28160
	global_load_dwordx4 v[20:23], v[14:15], off
	global_load_dwordx4 v[26:29], v196, s[8:9] offset:2640
	v_mad_u64_u32 v[14:15], s[14:15], s0, v18, v[14:15]
	v_add_u32_e32 v15, s2, v15
	s_waitcnt vmcnt(0)
	v_mul_f64 v[24:25], v[22:23], v[28:29]
	v_fmac_f64_e32 v[24:25], v[20:21], v[26:27]
	v_mul_f64 v[20:21], v[20:21], v[28:29]
	buffer_store_dword v26, off, s[44:47], 0 offset:364 ; 4-byte Folded Spill
	s_nop 0
	buffer_store_dword v27, off, s[44:47], 0 offset:368 ; 4-byte Folded Spill
	buffer_store_dword v28, off, s[44:47], 0 offset:372 ; 4-byte Folded Spill
	;; [unrolled: 1-line block ×3, first 2 shown]
	v_fma_f64 v[26:27], v[22:23], v[26:27], -v[20:21]
	ds_write_b128 v196, v[24:27] offset:2640
	global_load_dwordx4 v[20:23], v[14:15], off
	global_load_dwordx4 v[26:29], v[4:5], off offset:2944
	v_mad_u64_u32 v[14:15], s[14:15], s0, v18, v[14:15]
	v_add_u32_e32 v15, s2, v15
	s_waitcnt vmcnt(0)
	v_mul_f64 v[24:25], v[22:23], v[28:29]
	v_fmac_f64_e32 v[24:25], v[20:21], v[26:27]
	v_mul_f64 v[20:21], v[20:21], v[28:29]
	buffer_store_dword v26, off, s[44:47], 0 offset:380 ; 4-byte Folded Spill
	s_nop 0
	buffer_store_dword v27, off, s[44:47], 0 offset:384 ; 4-byte Folded Spill
	buffer_store_dword v28, off, s[44:47], 0 offset:388 ; 4-byte Folded Spill
	;; [unrolled: 1-line block ×3, first 2 shown]
	v_fma_f64 v[26:27], v[22:23], v[26:27], -v[20:21]
	ds_write_b128 v196, v[24:27] offset:7040
	global_load_dwordx4 v[20:23], v[14:15], off
	global_load_dwordx4 v[26:29], v[0:1], off offset:3248
	s_waitcnt vmcnt(0)
	v_mul_f64 v[24:25], v[22:23], v[28:29]
	v_fmac_f64_e32 v[24:25], v[20:21], v[26:27]
	v_mul_f64 v[0:1], v[20:21], v[28:29]
	buffer_store_dword v26, off, s[44:47], 0 offset:412 ; 4-byte Folded Spill
	s_nop 0
	buffer_store_dword v27, off, s[44:47], 0 offset:416 ; 4-byte Folded Spill
	buffer_store_dword v28, off, s[44:47], 0 offset:420 ; 4-byte Folded Spill
	;; [unrolled: 1-line block ×3, first 2 shown]
	v_fma_f64 v[26:27], v[22:23], v[26:27], -v[0:1]
	v_mad_u64_u32 v[0:1], s[14:15], s0, v18, v[14:15]
	ds_write_b128 v196, v[24:27] offset:11440
	v_add_u32_e32 v1, s2, v1
	global_load_dwordx4 v[20:23], v[0:1], off
	global_load_dwordx4 v[26:29], v[10:11], off offset:3552
	v_mad_u64_u32 v[0:1], s[14:15], s0, v18, v[0:1]
	v_add_u32_e32 v1, s2, v1
	s_waitcnt vmcnt(0)
	v_mul_f64 v[24:25], v[22:23], v[28:29]
	v_fmac_f64_e32 v[24:25], v[20:21], v[26:27]
	v_mul_f64 v[14:15], v[20:21], v[28:29]
	buffer_store_dword v26, off, s[44:47], 0 offset:428 ; 4-byte Folded Spill
	s_nop 0
	buffer_store_dword v27, off, s[44:47], 0 offset:432 ; 4-byte Folded Spill
	buffer_store_dword v28, off, s[44:47], 0 offset:436 ; 4-byte Folded Spill
	;; [unrolled: 1-line block ×3, first 2 shown]
	v_fma_f64 v[26:27], v[22:23], v[26:27], -v[14:15]
	ds_write_b128 v196, v[24:27] offset:15840
	global_load_dwordx4 v[20:23], v[0:1], off
	global_load_dwordx4 v[26:29], v[6:7], off offset:3856
	v_mad_u64_u32 v[0:1], s[14:15], s0, v18, v[0:1]
	v_add_u32_e32 v1, s2, v1
	s_waitcnt vmcnt(0)
	v_mul_f64 v[24:25], v[22:23], v[28:29]
	v_fmac_f64_e32 v[24:25], v[20:21], v[26:27]
	v_mul_f64 v[14:15], v[20:21], v[28:29]
	buffer_store_dword v26, off, s[44:47], 0 offset:460 ; 4-byte Folded Spill
	s_nop 0
	buffer_store_dword v27, off, s[44:47], 0 offset:464 ; 4-byte Folded Spill
	buffer_store_dword v28, off, s[44:47], 0 offset:468 ; 4-byte Folded Spill
	;; [unrolled: 1-line block ×3, first 2 shown]
	v_fma_f64 v[26:27], v[22:23], v[26:27], -v[14:15]
	ds_write_b128 v196, v[24:27] offset:20240
	global_load_dwordx4 v[20:23], v[0:1], off
	global_load_dwordx4 v[26:29], v[8:9], off offset:64
	s_waitcnt vmcnt(0)
	v_mul_f64 v[24:25], v[22:23], v[28:29]
	v_fmac_f64_e32 v[24:25], v[20:21], v[26:27]
	v_mul_f64 v[14:15], v[20:21], v[28:29]
	buffer_store_dword v26, off, s[44:47], 0 offset:348 ; 4-byte Folded Spill
	s_nop 0
	buffer_store_dword v27, off, s[44:47], 0 offset:352 ; 4-byte Folded Spill
	buffer_store_dword v28, off, s[44:47], 0 offset:356 ; 4-byte Folded Spill
	buffer_store_dword v29, off, s[44:47], 0 offset:360 ; 4-byte Folded Spill
	v_fma_f64 v[26:27], v[22:23], v[26:27], -v[14:15]
	ds_write_b128 v196, v[24:27] offset:24640
	v_mad_u64_u32 v[24:25], s[14:15], s0, v18, v[0:1]
	v_add_co_u32_e32 v14, vcc, s3, v2
	v_add_u32_e32 v25, s2, v25
	v_addc_co_u32_e32 v15, vcc, 0, v3, vcc
	global_load_dwordx4 v[20:23], v[24:25], off
	global_load_dwordx4 v[26:29], v[14:15], off offset:368
	v_mad_u64_u32 v[16:17], s[14:15], s0, v16, v[24:25]
	v_add_u32_e32 v17, s1, v17
	s_movk_i32 s3, 0xdc
	v_add_co_u32_e32 v160, vcc, s3, v176
	v_accvgpr_write_b32 a226, v160
	s_waitcnt vmcnt(0)
	v_mul_f64 v[0:1], v[22:23], v[28:29]
	v_fmac_f64_e32 v[0:1], v[20:21], v[26:27]
	v_mul_f64 v[2:3], v[20:21], v[28:29]
	buffer_store_dword v26, off, s[44:47], 0 offset:396 ; 4-byte Folded Spill
	s_nop 0
	buffer_store_dword v27, off, s[44:47], 0 offset:400 ; 4-byte Folded Spill
	buffer_store_dword v28, off, s[44:47], 0 offset:404 ; 4-byte Folded Spill
	;; [unrolled: 1-line block ×3, first 2 shown]
	v_fma_f64 v[2:3], v[22:23], v[26:27], -v[2:3]
	ds_write_b128 v196, v[0:3] offset:29040
	global_load_dwordx4 v[0:3], v[16:17], off
	global_load_dwordx4 v[22:25], v196, s[8:9] offset:3520
	v_mad_u64_u32 v[16:17], s[14:15], s0, v18, v[16:17]
	v_add_u32_e32 v17, s2, v17
	s_waitcnt vmcnt(0)
	v_mul_f64 v[20:21], v[2:3], v[24:25]
	v_fmac_f64_e32 v[20:21], v[0:1], v[22:23]
	v_mul_f64 v[0:1], v[0:1], v[24:25]
	buffer_store_dword v22, off, s[44:47], 0 offset:444 ; 4-byte Folded Spill
	s_nop 0
	buffer_store_dword v23, off, s[44:47], 0 offset:448 ; 4-byte Folded Spill
	buffer_store_dword v24, off, s[44:47], 0 offset:452 ; 4-byte Folded Spill
	buffer_store_dword v25, off, s[44:47], 0 offset:456 ; 4-byte Folded Spill
	v_fma_f64 v[22:23], v[2:3], v[22:23], -v[0:1]
	ds_write_b128 v196, v[20:23] offset:3520
	global_load_dwordx4 v[0:3], v[16:17], off
	global_load_dwordx4 v[22:25], v[4:5], off offset:3824
	v_mad_u64_u32 v[4:5], s[14:15], s0, v18, v[16:17]
	v_add_u32_e32 v5, s2, v5
	s_waitcnt vmcnt(0)
	v_mul_f64 v[20:21], v[2:3], v[24:25]
	v_fmac_f64_e32 v[20:21], v[0:1], v[22:23]
	v_mul_f64 v[0:1], v[0:1], v[24:25]
	buffer_store_dword v22, off, s[44:47], 0 offset:476 ; 4-byte Folded Spill
	s_nop 0
	buffer_store_dword v23, off, s[44:47], 0 offset:480 ; 4-byte Folded Spill
	buffer_store_dword v24, off, s[44:47], 0 offset:484 ; 4-byte Folded Spill
	buffer_store_dword v25, off, s[44:47], 0 offset:488 ; 4-byte Folded Spill
	v_fma_f64 v[22:23], v[2:3], v[22:23], -v[0:1]
	ds_write_b128 v196, v[20:23] offset:7920
	global_load_dwordx4 v[0:3], v[4:5], off
	global_load_dwordx4 v[22:25], v[10:11], off offset:32
	;; [unrolled: 15-line block ×4, first 2 shown]
	v_mad_u64_u32 v[10:11], s[14:15], s0, v18, v[10:11]
	v_add_u32_e32 v11, s2, v11
	s_mov_b32 s14, 0x429ad128
	s_mov_b32 s15, 0x3febfeb5
	s_waitcnt vmcnt(0)
	v_mul_f64 v[4:5], v[2:3], v[22:23]
	v_fmac_f64_e32 v[4:5], v[0:1], v[20:21]
	v_mul_f64 v[0:1], v[0:1], v[22:23]
	buffer_store_dword v20, off, s[44:47], 0 offset:524 ; 4-byte Folded Spill
	s_nop 0
	buffer_store_dword v21, off, s[44:47], 0 offset:528 ; 4-byte Folded Spill
	buffer_store_dword v22, off, s[44:47], 0 offset:532 ; 4-byte Folded Spill
	;; [unrolled: 1-line block ×3, first 2 shown]
	v_fma_f64 v[6:7], v[2:3], v[20:21], -v[0:1]
	ds_write_b128 v196, v[4:7] offset:21120
	global_load_dwordx4 v[0:3], v[10:11], off
	s_nop 0
	global_load_dwordx4 v[6:9], v[8:9], off offset:944
	s_waitcnt vmcnt(0)
	v_mul_f64 v[4:5], v[2:3], v[8:9]
	v_fmac_f64_e32 v[4:5], v[0:1], v[6:7]
	v_mul_f64 v[0:1], v[0:1], v[8:9]
	buffer_store_dword v6, off, s[44:47], 0 offset:540 ; 4-byte Folded Spill
	s_nop 0
	buffer_store_dword v7, off, s[44:47], 0 offset:544 ; 4-byte Folded Spill
	buffer_store_dword v8, off, s[44:47], 0 offset:548 ; 4-byte Folded Spill
	;; [unrolled: 1-line block ×3, first 2 shown]
	v_fma_f64 v[6:7], v[2:3], v[6:7], -v[0:1]
	v_mad_u64_u32 v[0:1], s[0:1], s0, v18, v[10:11]
	ds_write_b128 v196, v[4:7] offset:25520
	v_add_u32_e32 v1, s2, v1
	global_load_dwordx4 v[0:3], v[0:1], off
	s_nop 0
	global_load_dwordx4 v[6:9], v[14:15], off offset:1248
	s_mov_b32 s2, 0x36b3c0b5
	s_mov_b32 s3, 0x3fac98ee
	;; [unrolled: 1-line block ×4, first 2 shown]
	s_waitcnt vmcnt(0)
	v_mul_f64 v[4:5], v[2:3], v[8:9]
	v_fmac_f64_e32 v[4:5], v[0:1], v[6:7]
	v_mul_f64 v[0:1], v[0:1], v[8:9]
	buffer_store_dword v6, off, s[44:47], 0 offset:556 ; 4-byte Folded Spill
	s_nop 0
	buffer_store_dword v7, off, s[44:47], 0 offset:560 ; 4-byte Folded Spill
	buffer_store_dword v8, off, s[44:47], 0 offset:564 ; 4-byte Folded Spill
	;; [unrolled: 1-line block ×3, first 2 shown]
	v_fma_f64 v[6:7], v[2:3], v[6:7], -v[0:1]
	ds_write_b128 v196, v[4:7] offset:29920
	s_waitcnt lgkmcnt(0)
	; wave barrier
	s_waitcnt lgkmcnt(0)
	ds_read_b128 v[4:7], v196
	ds_read_b128 v[8:11], v196 offset:4400
	ds_read_b128 v[20:23], v196 offset:8800
	;; [unrolled: 1-line block ×34, first 2 shown]
	s_waitcnt lgkmcnt(14)
	v_add_f64 v[140:141], v[8:9], v[28:29]
	v_add_f64 v[8:9], v[8:9], -v[28:29]
	v_add_f64 v[28:29], v[20:21], v[24:25]
	v_add_f64 v[142:143], v[10:11], v[30:31]
	v_add_f64 v[10:11], v[10:11], -v[30:31]
	v_add_f64 v[30:31], v[22:23], v[26:27]
	v_add_f64 v[20:21], v[20:21], -v[24:25]
	;; [unrolled: 2-line block ×5, first 2 shown]
	v_add_f64 v[18:19], v[30:31], v[142:143]
	v_add_f64 v[16:17], v[24:25], v[16:17]
	;; [unrolled: 1-line block ×4, first 2 shown]
	v_add_f64 v[144:145], v[28:29], -v[140:141]
	v_add_f64 v[146:147], v[30:31], -v[142:143]
	;; [unrolled: 1-line block ×6, first 2 shown]
	v_add_f64 v[148:149], v[12:13], v[20:21]
	v_add_f64 v[150:151], v[14:15], v[22:23]
	v_add_f64 v[152:153], v[12:13], -v[20:21]
	v_add_f64 v[154:155], v[14:15], -v[22:23]
	;; [unrolled: 1-line block ×4, first 2 shown]
	v_add_f64 v[6:7], v[6:7], v[18:19]
	v_pk_mov_b32 v[156:157], v[4:5], v[4:5] op_sel:[0,1]
	v_add_f64 v[12:13], v[8:9], -v[12:13]
	v_add_f64 v[14:15], v[10:11], -v[14:15]
	v_add_f64 v[8:9], v[148:149], v[8:9]
	v_add_f64 v[10:11], v[150:151], v[10:11]
	v_mul_f64 v[24:25], v[140:141], s[26:27]
	v_mul_f64 v[26:27], v[142:143], s[26:27]
	;; [unrolled: 1-line block ×8, first 2 shown]
	v_fmac_f64_e32 v[156:157], s[24:25], v[16:17]
	v_pk_mov_b32 v[16:17], v[6:7], v[6:7] op_sel:[0,1]
	v_fmac_f64_e32 v[16:17], s[24:25], v[18:19]
	v_fma_f64 v[18:19], v[144:145], s[16:17], -v[140:141]
	v_fma_f64 v[140:141], v[146:147], s[16:17], -v[142:143]
	;; [unrolled: 1-line block ×4, first 2 shown]
	v_fmac_f64_e32 v[148:149], s[20:21], v[12:13]
	v_fma_f64 v[152:153], v[12:13], s[22:23], -v[152:153]
	v_fma_f64 v[12:13], v[14:15], s[22:23], -v[154:155]
	v_fmac_f64_e32 v[24:25], s[2:3], v[28:29]
	v_fma_f64 v[28:29], v[146:147], s[18:19], -v[26:27]
	v_fma_f64 v[146:147], v[22:23], s[14:15], -v[150:151]
	v_fmac_f64_e32 v[150:151], s[20:21], v[14:15]
	v_add_f64 v[14:15], v[18:19], v[156:157]
	v_add_f64 v[18:19], v[140:141], v[16:17]
	;; [unrolled: 1-line block ×3, first 2 shown]
	v_fmac_f64_e32 v[12:13], s[0:1], v[10:11]
	v_fmac_f64_e32 v[26:27], s[2:3], v[30:31]
	v_add_f64 v[154:155], v[24:25], v[156:157]
	v_add_f64 v[142:143], v[28:29], v[16:17]
	v_fmac_f64_e32 v[146:147], s[0:1], v[10:11]
	v_fmac_f64_e32 v[152:153], s[0:1], v[8:9]
	v_add_f64 v[24:25], v[140:141], v[12:13]
	v_add_f64 v[12:13], v[140:141], -v[12:13]
	v_add_f64 v[140:141], v[36:37], v[56:57]
	v_add_f64 v[36:37], v[36:37], -v[56:57]
	v_add_f64 v[56:57], v[44:45], v[52:53]
	v_add_f64 v[158:159], v[26:27], v[16:17]
	v_add_f64 v[26:27], v[142:143], -v[152:153]
	v_add_f64 v[20:21], v[14:15], -v[146:147]
	v_add_f64 v[16:17], v[14:15], v[146:147]
	v_add_f64 v[14:15], v[152:153], v[142:143]
	;; [unrolled: 1-line block ×3, first 2 shown]
	v_add_f64 v[38:39], v[38:39], -v[58:59]
	v_add_f64 v[58:59], v[46:47], v[54:55]
	v_add_f64 v[44:45], v[44:45], -v[52:53]
	v_add_f64 v[52:53], v[40:41], v[48:49]
	;; [unrolled: 2-line block ×5, first 2 shown]
	v_add_f64 v[48:49], v[52:53], v[48:49]
	v_fmac_f64_e32 v[148:149], s[0:1], v[8:9]
	v_fmac_f64_e32 v[150:151], s[0:1], v[10:11]
	;; [unrolled: 1-line block ×3, first 2 shown]
	v_add_f64 v[50:51], v[54:55], v[50:51]
	v_add_f64 v[32:33], v[32:33], v[48:49]
	;; [unrolled: 1-line block ×3, first 2 shown]
	v_add_f64 v[30:31], v[158:159], -v[148:149]
	v_add_f64 v[22:23], v[144:145], v[18:19]
	v_add_f64 v[18:19], v[18:19], -v[144:145]
	v_add_f64 v[8:9], v[154:155], -v[150:151]
	v_add_f64 v[10:11], v[148:149], v[158:159]
	v_add_f64 v[144:145], v[56:57], -v[140:141]
	v_add_f64 v[146:147], v[58:59], -v[142:143]
	;; [unrolled: 1-line block ×6, first 2 shown]
	v_add_f64 v[148:149], v[40:41], v[44:45]
	v_add_f64 v[150:151], v[42:43], v[46:47]
	v_add_f64 v[152:153], v[40:41], -v[44:45]
	v_add_f64 v[154:155], v[42:43], -v[46:47]
	v_add_f64 v[44:45], v[44:45], -v[36:37]
	v_add_f64 v[46:47], v[46:47], -v[38:39]
	v_add_f64 v[34:35], v[34:35], v[50:51]
	v_pk_mov_b32 v[156:157], v[32:33], v[32:33] op_sel:[0,1]
	v_add_f64 v[40:41], v[36:37], -v[40:41]
	v_add_f64 v[42:43], v[38:39], -v[42:43]
	v_add_f64 v[36:37], v[148:149], v[36:37]
	v_add_f64 v[38:39], v[150:151], v[38:39]
	v_mul_f64 v[52:53], v[140:141], s[26:27]
	v_mul_f64 v[54:55], v[142:143], s[26:27]
	;; [unrolled: 1-line block ×8, first 2 shown]
	v_fmac_f64_e32 v[156:157], s[24:25], v[48:49]
	v_pk_mov_b32 v[48:49], v[34:35], v[34:35] op_sel:[0,1]
	v_fmac_f64_e32 v[48:49], s[24:25], v[50:51]
	v_fma_f64 v[50:51], v[144:145], s[16:17], -v[140:141]
	v_fma_f64 v[140:141], v[146:147], s[16:17], -v[142:143]
	;; [unrolled: 1-line block ×3, first 2 shown]
	v_fmac_f64_e32 v[52:53], s[2:3], v[56:57]
	v_fma_f64 v[56:57], v[146:147], s[18:19], -v[54:55]
	v_fma_f64 v[144:145], v[44:45], s[14:15], -v[148:149]
	v_fmac_f64_e32 v[148:149], s[20:21], v[40:41]
	v_fma_f64 v[146:147], v[40:41], s[22:23], -v[152:153]
	v_fma_f64 v[40:41], v[42:43], s[22:23], -v[154:155]
	;; [unrolled: 1-line block ×3, first 2 shown]
	v_add_f64 v[46:47], v[140:141], v[48:49]
	v_add_f64 v[140:141], v[142:143], v[156:157]
	v_fmac_f64_e32 v[40:41], s[0:1], v[38:39]
	v_fmac_f64_e32 v[54:55], s[2:3], v[58:59]
	;; [unrolled: 1-line block ×3, first 2 shown]
	v_add_f64 v[152:153], v[52:53], v[156:157]
	v_add_f64 v[42:43], v[50:51], v[156:157]
	;; [unrolled: 1-line block ×3, first 2 shown]
	v_fmac_f64_e32 v[44:45], s[0:1], v[38:39]
	v_fmac_f64_e32 v[146:147], s[0:1], v[36:37]
	v_add_f64 v[52:53], v[140:141], v[40:41]
	v_add_f64 v[40:41], v[140:141], -v[40:41]
	v_add_f64 v[140:141], v[72:73], v[88:89]
	v_add_f64 v[72:73], v[72:73], -v[88:89]
	v_add_f64 v[88:89], v[68:69], v[84:85]
	v_add_f64 v[154:155], v[54:55], v[48:49]
	v_add_f64 v[54:55], v[142:143], -v[146:147]
	v_add_f64 v[48:49], v[42:43], -v[44:45]
	v_add_f64 v[44:45], v[42:43], v[44:45]
	v_add_f64 v[42:43], v[146:147], v[142:143]
	;; [unrolled: 1-line block ×3, first 2 shown]
	v_add_f64 v[74:75], v[74:75], -v[90:91]
	v_add_f64 v[90:91], v[70:71], v[86:87]
	v_add_f64 v[68:69], v[68:69], -v[84:85]
	v_add_f64 v[84:85], v[76:77], v[80:81]
	;; [unrolled: 2-line block ×5, first 2 shown]
	v_add_f64 v[80:81], v[84:85], v[80:81]
	v_fmac_f64_e32 v[148:149], s[0:1], v[36:37]
	v_fmac_f64_e32 v[150:151], s[0:1], v[38:39]
	;; [unrolled: 1-line block ×3, first 2 shown]
	v_add_f64 v[82:83], v[86:87], v[82:83]
	v_add_f64 v[64:65], v[64:65], v[80:81]
	;; [unrolled: 1-line block ×3, first 2 shown]
	v_add_f64 v[58:59], v[154:155], -v[148:149]
	v_add_f64 v[50:51], v[144:145], v[46:47]
	v_add_f64 v[46:47], v[46:47], -v[144:145]
	v_add_f64 v[36:37], v[152:153], -v[150:151]
	v_add_f64 v[38:39], v[148:149], v[154:155]
	v_add_f64 v[144:145], v[88:89], -v[140:141]
	v_add_f64 v[146:147], v[90:91], -v[142:143]
	;; [unrolled: 1-line block ×6, first 2 shown]
	v_add_f64 v[150:151], v[78:79], v[70:71]
	v_add_f64 v[154:155], v[78:79], -v[70:71]
	v_add_f64 v[70:71], v[70:71], -v[74:75]
	v_add_f64 v[66:67], v[66:67], v[82:83]
	v_pk_mov_b32 v[156:157], v[64:65], v[64:65] op_sel:[0,1]
	v_add_f64 v[148:149], v[76:77], v[68:69]
	v_add_f64 v[152:153], v[76:77], -v[68:69]
	v_add_f64 v[78:79], v[74:75], -v[78:79]
	;; [unrolled: 1-line block ×3, first 2 shown]
	v_add_f64 v[74:75], v[150:151], v[74:75]
	v_mul_f64 v[84:85], v[140:141], s[26:27]
	v_mul_f64 v[86:87], v[142:143], s[26:27]
	;; [unrolled: 1-line block ×6, first 2 shown]
	v_fmac_f64_e32 v[156:157], s[24:25], v[80:81]
	v_pk_mov_b32 v[80:81], v[66:67], v[66:67] op_sel:[0,1]
	v_add_f64 v[76:77], v[72:73], -v[76:77]
	v_add_f64 v[72:73], v[148:149], v[72:73]
	v_mul_f64 v[148:149], v[152:153], s[28:29]
	v_mul_f64 v[152:153], v[68:69], s[14:15]
	v_fmac_f64_e32 v[80:81], s[24:25], v[82:83]
	v_fma_f64 v[82:83], v[144:145], s[16:17], -v[140:141]
	v_fma_f64 v[140:141], v[146:147], s[16:17], -v[142:143]
	;; [unrolled: 1-line block ×3, first 2 shown]
	v_fmac_f64_e32 v[84:85], s[2:3], v[88:89]
	v_fma_f64 v[88:89], v[146:147], s[18:19], -v[86:87]
	v_fma_f64 v[146:147], v[78:79], s[22:23], -v[154:155]
	v_fma_f64 v[68:69], v[68:69], s[14:15], -v[148:149]
	v_fmac_f64_e32 v[148:149], s[20:21], v[76:77]
	v_fma_f64 v[70:71], v[70:71], s[14:15], -v[150:151]
	v_fmac_f64_e32 v[150:151], s[20:21], v[78:79]
	v_fma_f64 v[144:145], v[76:77], s[22:23], -v[152:153]
	v_add_f64 v[78:79], v[140:141], v[80:81]
	v_add_f64 v[140:141], v[142:143], v[156:157]
	v_fmac_f64_e32 v[146:147], s[0:1], v[74:75]
	v_fmac_f64_e32 v[86:87], s[2:3], v[90:91]
	v_add_f64 v[152:153], v[84:85], v[156:157]
	v_add_f64 v[142:143], v[88:89], v[80:81]
	v_fmac_f64_e32 v[148:149], s[0:1], v[72:73]
	v_fmac_f64_e32 v[68:69], s[0:1], v[72:73]
	;; [unrolled: 1-line block ×3, first 2 shown]
	v_add_f64 v[84:85], v[140:141], v[146:147]
	v_add_f64 v[72:73], v[140:141], -v[146:147]
	s_waitcnt lgkmcnt(7)
	v_add_f64 v[140:141], v[96:97], v[116:117]
	v_add_f64 v[96:97], v[96:97], -v[116:117]
	v_add_f64 v[116:117], v[108:109], v[112:113]
	v_add_f64 v[154:155], v[86:87], v[80:81]
	v_fmac_f64_e32 v[150:151], s[0:1], v[74:75]
	v_fmac_f64_e32 v[70:71], s[0:1], v[74:75]
	v_add_f64 v[86:87], v[142:143], -v[144:145]
	v_add_f64 v[74:75], v[144:145], v[142:143]
	v_add_f64 v[142:143], v[98:99], v[118:119]
	v_add_f64 v[98:99], v[98:99], -v[118:119]
	v_add_f64 v[118:119], v[110:111], v[114:115]
	v_add_f64 v[108:109], v[108:109], -v[112:113]
	;; [unrolled: 2-line block ×5, first 2 shown]
	v_add_f64 v[106:107], v[118:119], v[142:143]
	v_add_f64 v[104:105], v[112:113], v[104:105]
	;; [unrolled: 1-line block ×6, first 2 shown]
	v_add_f64 v[90:91], v[154:155], -v[148:149]
	v_add_f64 v[80:81], v[76:77], -v[70:71]
	v_add_f64 v[82:83], v[68:69], v[78:79]
	v_add_f64 v[76:77], v[76:77], v[70:71]
	v_add_f64 v[78:79], v[78:79], -v[68:69]
	v_add_f64 v[68:69], v[152:153], -v[150:151]
	v_add_f64 v[70:71], v[148:149], v[154:155]
	v_add_f64 v[144:145], v[116:117], -v[140:141]
	v_add_f64 v[146:147], v[118:119], -v[142:143]
	;; [unrolled: 1-line block ×6, first 2 shown]
	v_add_f64 v[148:149], v[100:101], v[108:109]
	v_add_f64 v[150:151], v[102:103], v[110:111]
	v_add_f64 v[152:153], v[100:101], -v[108:109]
	v_add_f64 v[154:155], v[102:103], -v[110:111]
	;; [unrolled: 1-line block ×4, first 2 shown]
	v_add_f64 v[94:95], v[94:95], v[106:107]
	v_pk_mov_b32 v[156:157], v[92:93], v[92:93] op_sel:[0,1]
	v_add_f64 v[100:101], v[96:97], -v[100:101]
	v_add_f64 v[102:103], v[98:99], -v[102:103]
	v_add_f64 v[96:97], v[148:149], v[96:97]
	v_add_f64 v[98:99], v[150:151], v[98:99]
	v_mul_f64 v[112:113], v[140:141], s[26:27]
	v_mul_f64 v[114:115], v[142:143], s[26:27]
	;; [unrolled: 1-line block ×8, first 2 shown]
	v_fmac_f64_e32 v[156:157], s[24:25], v[104:105]
	v_pk_mov_b32 v[104:105], v[94:95], v[94:95] op_sel:[0,1]
	v_fmac_f64_e32 v[104:105], s[24:25], v[106:107]
	v_fma_f64 v[106:107], v[144:145], s[16:17], -v[140:141]
	v_fma_f64 v[140:141], v[146:147], s[16:17], -v[142:143]
	;; [unrolled: 1-line block ×4, first 2 shown]
	v_fmac_f64_e32 v[148:149], s[20:21], v[100:101]
	v_fma_f64 v[152:153], v[100:101], s[22:23], -v[152:153]
	v_fma_f64 v[100:101], v[102:103], s[22:23], -v[154:155]
	v_fmac_f64_e32 v[112:113], s[2:3], v[116:117]
	v_fma_f64 v[116:117], v[146:147], s[18:19], -v[114:115]
	v_fma_f64 v[146:147], v[110:111], s[14:15], -v[150:151]
	v_fmac_f64_e32 v[150:151], s[20:21], v[102:103]
	v_add_f64 v[102:103], v[106:107], v[156:157]
	v_add_f64 v[106:107], v[140:141], v[104:105]
	;; [unrolled: 1-line block ×3, first 2 shown]
	v_fmac_f64_e32 v[100:101], s[0:1], v[98:99]
	v_fmac_f64_e32 v[114:115], s[2:3], v[118:119]
	v_add_f64 v[154:155], v[112:113], v[156:157]
	v_add_f64 v[142:143], v[116:117], v[104:105]
	v_fmac_f64_e32 v[146:147], s[0:1], v[98:99]
	v_fmac_f64_e32 v[152:153], s[0:1], v[96:97]
	v_add_f64 v[112:113], v[140:141], v[100:101]
	v_add_f64 v[100:101], v[140:141], -v[100:101]
	s_waitcnt lgkmcnt(0)
	v_add_f64 v[140:141], v[132:133], v[136:137]
	v_add_f64 v[132:133], v[132:133], -v[136:137]
	v_add_f64 v[136:137], v[124:125], v[128:129]
	v_add_f64 v[158:159], v[114:115], v[104:105]
	v_fmac_f64_e32 v[144:145], s[0:1], v[96:97]
	v_add_f64 v[114:115], v[142:143], -v[152:153]
	v_add_f64 v[108:109], v[102:103], -v[146:147]
	v_add_f64 v[104:105], v[102:103], v[146:147]
	v_add_f64 v[102:103], v[152:153], v[142:143]
	;; [unrolled: 1-line block ×3, first 2 shown]
	v_add_f64 v[134:135], v[134:135], -v[138:139]
	v_add_f64 v[138:139], v[126:127], v[130:131]
	v_add_f64 v[130:131], v[126:127], -v[130:131]
	v_add_f64 v[126:127], v[60:61], v[120:121]
	;; [unrolled: 2-line block ×3, first 2 shown]
	v_add_f64 v[110:111], v[144:145], v[106:107]
	v_add_f64 v[106:107], v[106:107], -v[144:145]
	v_add_f64 v[128:129], v[124:125], -v[128:129]
	v_add_f64 v[124:125], v[62:63], v[122:123]
	v_add_f64 v[62:63], v[122:123], -v[62:63]
	v_add_f64 v[122:123], v[138:139], v[142:143]
	v_add_f64 v[144:145], v[136:137], -v[140:141]
	v_add_f64 v[140:141], v[140:141], -v[126:127]
	;; [unrolled: 1-line block ×3, first 2 shown]
	v_add_f64 v[126:127], v[126:127], v[120:121]
	v_fmac_f64_e32 v[148:149], s[0:1], v[96:97]
	v_add_f64 v[146:147], v[138:139], -v[142:143]
	v_add_f64 v[142:143], v[142:143], -v[124:125]
	;; [unrolled: 1-line block ×3, first 2 shown]
	v_add_f64 v[124:125], v[124:125], v[122:123]
	v_add_f64 v[120:121], v[0:1], v[126:127]
	v_fmac_f64_e32 v[150:151], s[0:1], v[98:99]
	v_add_f64 v[118:119], v[158:159], -v[148:149]
	v_add_f64 v[98:99], v[148:149], v[158:159]
	v_add_f64 v[148:149], v[60:61], v[128:129]
	v_add_f64 v[152:153], v[60:61], -v[128:129]
	v_add_f64 v[122:123], v[2:3], v[124:125]
	v_pk_mov_b32 v[156:157], v[120:121], v[120:121] op_sel:[0,1]
	v_add_f64 v[116:117], v[154:155], v[150:151]
	v_add_f64 v[96:97], v[154:155], -v[150:151]
	v_add_f64 v[150:151], v[62:63], v[130:131]
	v_add_f64 v[154:155], v[62:63], -v[130:131]
	v_add_f64 v[60:61], v[132:133], -v[60:61]
	;; [unrolled: 1-line block ×4, first 2 shown]
	v_add_f64 v[132:133], v[148:149], v[132:133]
	v_mul_f64 v[0:1], v[140:141], s[26:27]
	v_mul_f64 v[2:3], v[142:143], s[26:27]
	;; [unrolled: 1-line block ×5, first 2 shown]
	v_fmac_f64_e32 v[156:157], s[24:25], v[126:127]
	v_pk_mov_b32 v[126:127], v[122:123], v[122:123] op_sel:[0,1]
	v_add_f64 v[62:63], v[134:135], -v[62:63]
	v_add_f64 v[134:135], v[150:151], v[134:135]
	v_mul_f64 v[150:151], v[154:155], s[28:29]
	v_mul_f64 v[154:155], v[130:131], s[14:15]
	v_fmac_f64_e32 v[126:127], s[24:25], v[124:125]
	v_fma_f64 v[124:125], s[2:3], v[136:137], v[0:1]
	v_fma_f64 v[136:137], v[144:145], s[16:17], -v[140:141]
	v_fma_f64 v[140:141], v[146:147], s[16:17], -v[142:143]
	;; [unrolled: 1-line block ×3, first 2 shown]
	v_fmac_f64_e32 v[2:3], s[2:3], v[138:139]
	v_fma_f64 v[138:139], v[128:129], s[14:15], -v[148:149]
	v_fma_f64 v[146:147], v[130:131], s[14:15], -v[150:151]
	v_fmac_f64_e32 v[150:151], s[20:21], v[62:63]
	v_fma_f64 v[62:63], v[62:63], s[22:23], -v[154:155]
	v_add_f64 v[140:141], v[140:141], v[126:127]
	v_fmac_f64_e32 v[138:139], s[0:1], v[132:133]
	v_fmac_f64_e32 v[150:151], s[0:1], v[134:135]
	;; [unrolled: 1-line block ×4, first 2 shown]
	v_add_f64 v[134:135], v[138:139], v[140:141]
	v_add_f64 v[138:139], v[140:141], -v[138:139]
	v_mul_lo_u16_e32 v140, 7, v176
	v_lshlrev_b32_e32 v140, 4, v140
	s_waitcnt lgkmcnt(0)
	; wave barrier
	ds_write_b128 v140, v[4:7]
	ds_write_b128 v140, v[28:31] offset:16
	ds_write_b128 v140, v[24:27] offset:32
	;; [unrolled: 1-line block ×5, first 2 shown]
	v_mul_u32_u24_e32 v4, 7, v194
	v_lshlrev_b32_e32 v4, 4, v4
	buffer_store_dword v140, off, s[44:47], 0 offset:856 ; 4-byte Folded Spill
	ds_write_b128 v140, v[8:11] offset:96
	ds_write_b128 v4, v[32:35]
	ds_write_b128 v4, v[56:59] offset:16
	ds_write_b128 v4, v[52:55] offset:32
	;; [unrolled: 1-line block ×5, first 2 shown]
	buffer_store_dword v4, off, s[44:47], 0 offset:788 ; 4-byte Folded Spill
	ds_write_b128 v4, v[36:39] offset:96
	v_mul_u32_u24_e32 v4, 7, v162
	v_lshlrev_b32_e32 v4, 4, v4
	v_mul_f64 v[152:153], v[128:129], s[14:15]
	ds_write_b128 v4, v[64:67]
	ds_write_b128 v4, v[88:91] offset:16
	ds_write_b128 v4, v[84:87] offset:32
	;; [unrolled: 1-line block ×5, first 2 shown]
	buffer_store_dword v4, off, s[44:47], 0 offset:736 ; 4-byte Folded Spill
	ds_write_b128 v4, v[68:71] offset:96
	v_mul_u32_u24_e32 v4, 7, v178
	v_fma_f64 v[0:1], v[144:145], s[18:19], -v[0:1]
	v_fma_f64 v[144:145], s[20:21], v[60:61], v[148:149]
	v_fma_f64 v[60:61], v[60:61], s[22:23], -v[152:153]
	v_lshlrev_b32_e32 v4, 4, v4
	v_add_f64 v[148:149], v[124:125], v[156:157]
	v_add_f64 v[152:153], v[2:3], v[126:127]
	;; [unrolled: 1-line block ×5, first 2 shown]
	v_fmac_f64_e32 v[144:145], s[0:1], v[132:133]
	v_fmac_f64_e32 v[60:61], s[0:1], v[132:133]
	ds_write_b128 v4, v[92:95]
	ds_write_b128 v4, v[116:119] offset:16
	ds_write_b128 v4, v[112:115] offset:32
	;; [unrolled: 1-line block ×5, first 2 shown]
	buffer_store_dword v4, off, s[44:47], 0 offset:668 ; 4-byte Folded Spill
	ds_write_b128 v4, v[96:99] offset:96
	v_mul_u32_u24_e32 v4, 7, v160
	v_add_f64 v[128:129], v[148:149], v[150:151]
	v_add_f64 v[130:131], v[152:153], -v[144:145]
	v_add_f64 v[124:125], v[0:1], v[62:63]
	v_add_f64 v[126:127], v[142:143], -v[60:61]
	v_add_f64 v[132:133], v[2:3], -v[146:147]
	v_add_f64 v[136:137], v[2:3], v[146:147]
	v_add_f64 v[0:1], v[0:1], -v[62:63]
	v_add_f64 v[2:3], v[60:61], v[142:143]
	;; [unrolled: 2-line block ×3, first 2 shown]
	v_lshlrev_b32_e32 v4, 4, v4
	ds_write_b128 v4, v[120:123]
	ds_write_b128 v4, v[128:131] offset:16
	ds_write_b128 v4, v[124:127] offset:32
	;; [unrolled: 1-line block ×5, first 2 shown]
	buffer_store_dword v4, off, s[44:47], 0 offset:216 ; 4-byte Folded Spill
	ds_write_b128 v4, v[60:63] offset:96
	s_waitcnt lgkmcnt(0)
	; wave barrier
	s_waitcnt lgkmcnt(0)
	ds_read_b128 v[12:15], v196
	ds_read_b128 v[172:175], v196 offset:2800
	ds_read_b128 v[168:171], v196 offset:5600
	;; [unrolled: 1-line block ×32, first 2 shown]
	v_cmp_gt_u16_e64 s[0:1], 10, v176
                                        ; implicit-def: $vgpr44_vgpr45
                                        ; implicit-def: $vgpr48_vgpr49
                                        ; implicit-def: $vgpr56_vgpr57
                                        ; implicit-def: $vgpr4_vgpr5
                                        ; implicit-def: $vgpr20_vgpr21
                                        ; implicit-def: $vgpr32_vgpr33
                                        ; implicit-def: $vgpr40_vgpr41
                                        ; implicit-def: $vgpr24_vgpr25
                                        ; implicit-def: $vgpr36_vgpr37
	s_and_saveexec_b64 s[2:3], s[0:1]
	s_cbranch_execz .LBB0_3
; %bb.2:
	ds_read_b128 v[0:3], v196 offset:2640
	ds_read_b128 v[60:63], v196 offset:5440
	;; [unrolled: 1-line block ×11, first 2 shown]
.LBB0_3:
	s_or_b64 exec, exec, s[2:3]
	v_mov_b32_e32 v176, 37
	v_accvgpr_read_b32 v182, a44
	v_mul_lo_u16_sdwa v179, v182, v176 dst_sel:DWORD dst_unused:UNUSED_PAD src0_sel:BYTE_0 src1_sel:DWORD
	v_sub_u16_sdwa v180, v182, v179 dst_sel:DWORD dst_unused:UNUSED_PAD src0_sel:DWORD src1_sel:BYTE_1
	v_lshrrev_b16_e32 v180, 1, v180
	v_and_b32_e32 v180, 0x7f, v180
	v_add_u16_sdwa v179, v180, v179 dst_sel:DWORD dst_unused:UNUSED_PAD src0_sel:DWORD src1_sel:BYTE_1
	v_lshrrev_b16_e32 v180, 2, v179
	v_mul_lo_u16_e32 v179, 7, v180
	v_sub_u16_e32 v179, v182, v179
	v_and_b32_e32 v197, 0xff, v179
	v_mul_u32_u24_e32 v179, 10, v197
	v_lshlrev_b32_e32 v179, 4, v179
	global_load_dwordx4 v[182:185], v179, s[10:11] offset:48
	global_load_dwordx4 v[186:189], v179, s[10:11] offset:32
	;; [unrolled: 1-line block ×3, first 2 shown]
	global_load_dwordx4 v[198:201], v179, s[10:11]
	v_accvgpr_write_b32 a1, v180
	v_accvgpr_write_b32 a184, v194
	s_mov_b32 s26, 0xf8bb580b
	s_mov_b32 s38, 0x8eee2c13
	;; [unrolled: 1-line block ×28, first 2 shown]
	s_waitcnt vmcnt(3) lgkmcnt(14)
	v_mul_f64 v[230:231], v[160:161], v[184:185]
	s_waitcnt vmcnt(2)
	v_mul_f64 v[238:239], v[164:165], v[188:189]
	s_waitcnt vmcnt(1)
	;; [unrolled: 2-line block ×3, first 2 shown]
	v_mul_f64 v[180:181], v[174:175], v[200:201]
	v_fma_f64 v[220:221], v[172:173], v[198:199], -v[180:181]
	v_mul_f64 v[254:255], v[172:173], v[200:201]
	v_mul_f64 v[172:173], v[170:171], v[192:193]
	v_fma_f64 v[248:249], v[168:169], v[190:191], -v[172:173]
	v_mul_f64 v[168:169], v[166:167], v[188:189]
	v_fma_f64 v[240:241], v[164:165], v[186:187], -v[168:169]
	v_mul_f64 v[164:165], v[162:163], v[184:185]
	buffer_store_dword v198, off, s[44:47], 0 offset:620 ; 4-byte Folded Spill
	s_nop 0
	buffer_store_dword v199, off, s[44:47], 0 offset:624 ; 4-byte Folded Spill
	buffer_store_dword v200, off, s[44:47], 0 offset:628 ; 4-byte Folded Spill
	buffer_store_dword v201, off, s[44:47], 0 offset:632 ; 4-byte Folded Spill
	buffer_store_dword v190, off, s[44:47], 0 offset:604 ; 4-byte Folded Spill
	s_nop 0
	buffer_store_dword v191, off, s[44:47], 0 offset:608 ; 4-byte Folded Spill
	buffer_store_dword v192, off, s[44:47], 0 offset:612 ; 4-byte Folded Spill
	buffer_store_dword v193, off, s[44:47], 0 offset:616 ; 4-byte Folded Spill
	;; [unrolled: 5-line block ×3, first 2 shown]
	v_fma_f64 v[232:233], v[160:161], v[182:183], -v[164:165]
	buffer_store_dword v182, off, s[44:47], 0 offset:572 ; 4-byte Folded Spill
	s_nop 0
	buffer_store_dword v183, off, s[44:47], 0 offset:576 ; 4-byte Folded Spill
	buffer_store_dword v184, off, s[44:47], 0 offset:580 ; 4-byte Folded Spill
	;; [unrolled: 1-line block ×3, first 2 shown]
	v_fmac_f64_e32 v[254:255], v[174:175], v[198:199]
	v_fmac_f64_e32 v[246:247], v[170:171], v[190:191]
	;; [unrolled: 1-line block ×4, first 2 shown]
	global_load_dwordx4 v[162:165], v179, s[10:11] offset:112
	global_load_dwordx4 v[166:169], v179, s[10:11] offset:96
	;; [unrolled: 1-line block ×4, first 2 shown]
	s_waitcnt vmcnt(3)
	v_mul_f64 v[242:243], v[144:145], v[164:165]
	s_waitcnt vmcnt(2)
	v_mul_f64 v[234:235], v[148:149], v[168:169]
	;; [unrolled: 2-line block ×4, first 2 shown]
	v_fma_f64 v[224:225], v[156:157], v[180:181], -v[160:161]
	v_mul_f64 v[222:223], v[156:157], v[182:183]
	v_mul_f64 v[156:157], v[154:155], v[172:173]
	v_fma_f64 v[228:229], v[152:153], v[170:171], -v[156:157]
	v_mul_f64 v[152:153], v[150:151], v[168:169]
	v_fma_f64 v[236:237], v[148:149], v[166:167], -v[152:153]
	v_mul_f64 v[148:149], v[146:147], v[164:165]
	buffer_store_dword v180, off, s[44:47], 0 offset:720 ; 4-byte Folded Spill
	s_nop 0
	buffer_store_dword v181, off, s[44:47], 0 offset:724 ; 4-byte Folded Spill
	buffer_store_dword v182, off, s[44:47], 0 offset:728 ; 4-byte Folded Spill
	buffer_store_dword v183, off, s[44:47], 0 offset:732 ; 4-byte Folded Spill
	buffer_store_dword v170, off, s[44:47], 0 offset:704 ; 4-byte Folded Spill
	s_nop 0
	buffer_store_dword v171, off, s[44:47], 0 offset:708 ; 4-byte Folded Spill
	buffer_store_dword v172, off, s[44:47], 0 offset:712 ; 4-byte Folded Spill
	buffer_store_dword v173, off, s[44:47], 0 offset:716 ; 4-byte Folded Spill
	;; [unrolled: 5-line block ×3, first 2 shown]
	v_fma_f64 v[244:245], v[144:145], v[162:163], -v[148:149]
	buffer_store_dword v162, off, s[44:47], 0 offset:636 ; 4-byte Folded Spill
	s_nop 0
	buffer_store_dword v163, off, s[44:47], 0 offset:640 ; 4-byte Folded Spill
	buffer_store_dword v164, off, s[44:47], 0 offset:644 ; 4-byte Folded Spill
	buffer_store_dword v165, off, s[44:47], 0 offset:648 ; 4-byte Folded Spill
	v_fmac_f64_e32 v[222:223], v[158:159], v[180:181]
	v_fmac_f64_e32 v[226:227], v[154:155], v[170:171]
	;; [unrolled: 1-line block ×4, first 2 shown]
	global_load_dwordx4 v[146:149], v179, s[10:11] offset:144
	global_load_dwordx4 v[150:153], v179, s[10:11] offset:128
	s_waitcnt vmcnt(0)
	v_mul_f64 v[144:145], v[142:143], v[152:153]
	v_fma_f64 v[252:253], v[140:141], v[150:151], -v[144:145]
	v_mul_f64 v[250:251], v[140:141], v[152:153]
	v_mul_f64 v[140:141], v[138:139], v[148:149]
	buffer_store_dword v150, off, s[44:47], 0 offset:688 ; 4-byte Folded Spill
	s_nop 0
	buffer_store_dword v151, off, s[44:47], 0 offset:692 ; 4-byte Folded Spill
	buffer_store_dword v152, off, s[44:47], 0 offset:696 ; 4-byte Folded Spill
	;; [unrolled: 1-line block ×3, first 2 shown]
	v_fma_f64 v[140:141], v[136:137], v[146:147], -v[140:141]
	v_mul_f64 v[136:137], v[136:137], v[148:149]
	buffer_store_dword v146, off, s[44:47], 0 offset:652 ; 4-byte Folded Spill
	s_nop 0
	buffer_store_dword v147, off, s[44:47], 0 offset:656 ; 4-byte Folded Spill
	buffer_store_dword v148, off, s[44:47], 0 offset:660 ; 4-byte Folded Spill
	;; [unrolled: 1-line block ×3, first 2 shown]
	v_fmac_f64_e32 v[250:251], v[142:143], v[150:151]
	v_fmac_f64_e32 v[136:137], v[138:139], v[146:147]
	v_mul_lo_u16_sdwa v138, v194, v176 dst_sel:DWORD dst_unused:UNUSED_PAD src0_sel:BYTE_0 src1_sel:DWORD
	v_sub_u16_sdwa v139, v194, v138 dst_sel:DWORD dst_unused:UNUSED_PAD src0_sel:DWORD src1_sel:BYTE_1
	v_lshrrev_b16_e32 v139, 1, v139
	v_and_b32_e32 v139, 0x7f, v139
	v_add_u16_sdwa v138, v139, v138 dst_sel:DWORD dst_unused:UNUSED_PAD src0_sel:DWORD src1_sel:BYTE_1
	v_lshrrev_b16_e32 v139, 2, v138
	v_mul_lo_u16_e32 v138, 7, v139
	v_sub_u16_e32 v138, v194, v138
	v_accvgpr_write_b32 a2, v139
	v_and_b32_e32 v139, 0xff, v138
	v_mul_u32_u24_e32 v138, 10, v139
	v_lshlrev_b32_e32 v142, 4, v138
	global_load_dwordx4 v[144:147], v142, s[10:11] offset:48
	global_load_dwordx4 v[148:151], v142, s[10:11] offset:32
	;; [unrolled: 1-line block ×3, first 2 shown]
	global_load_dwordx4 v[156:159], v142, s[10:11]
	v_accvgpr_write_b32 a3, v139
	s_waitcnt vmcnt(3)
	v_mul_f64 v[206:207], v[120:121], v[146:147]
	s_waitcnt vmcnt(2)
	v_mul_f64 v[210:211], v[124:125], v[150:151]
	;; [unrolled: 2-line block ×4, first 2 shown]
	v_fma_f64 v[216:217], v[132:133], v[156:157], -v[138:139]
	v_mul_f64 v[218:219], v[132:133], v[158:159]
	v_mul_f64 v[132:133], v[130:131], v[154:155]
	v_fma_f64 v[212:213], v[128:129], v[152:153], -v[132:133]
	v_mul_f64 v[128:129], v[126:127], v[150:151]
	v_fma_f64 v[208:209], v[124:125], v[148:149], -v[128:129]
	v_mul_f64 v[124:125], v[122:123], v[146:147]
	buffer_store_dword v156, off, s[44:47], 0 offset:740 ; 4-byte Folded Spill
	s_nop 0
	buffer_store_dword v157, off, s[44:47], 0 offset:744 ; 4-byte Folded Spill
	buffer_store_dword v158, off, s[44:47], 0 offset:748 ; 4-byte Folded Spill
	buffer_store_dword v159, off, s[44:47], 0 offset:752 ; 4-byte Folded Spill
	buffer_store_dword v152, off, s[44:47], 0 offset:756 ; 4-byte Folded Spill
	s_nop 0
	buffer_store_dword v153, off, s[44:47], 0 offset:760 ; 4-byte Folded Spill
	buffer_store_dword v154, off, s[44:47], 0 offset:764 ; 4-byte Folded Spill
	buffer_store_dword v155, off, s[44:47], 0 offset:768 ; 4-byte Folded Spill
	;; [unrolled: 5-line block ×3, first 2 shown]
	v_fma_f64 v[204:205], v[120:121], v[144:145], -v[124:125]
	buffer_store_dword v144, off, s[44:47], 0 offset:792 ; 4-byte Folded Spill
	s_nop 0
	buffer_store_dword v145, off, s[44:47], 0 offset:796 ; 4-byte Folded Spill
	buffer_store_dword v146, off, s[44:47], 0 offset:800 ; 4-byte Folded Spill
	;; [unrolled: 1-line block ×3, first 2 shown]
	v_fmac_f64_e32 v[218:219], v[134:135], v[156:157]
	v_fmac_f64_e32 v[214:215], v[130:131], v[152:153]
	;; [unrolled: 1-line block ×4, first 2 shown]
	global_load_dwordx4 v[122:125], v142, s[10:11] offset:112
	global_load_dwordx4 v[126:129], v142, s[10:11] offset:96
	;; [unrolled: 1-line block ×4, first 2 shown]
	s_waitcnt vmcnt(0)
	v_mul_f64 v[120:121], v[118:119], v[146:147]
	v_fma_f64 v[120:121], v[116:117], v[144:145], -v[120:121]
	v_mul_f64 v[116:117], v[116:117], v[146:147]
	buffer_store_dword v144, off, s[44:47], 0 offset:808 ; 4-byte Folded Spill
	s_nop 0
	buffer_store_dword v145, off, s[44:47], 0 offset:812 ; 4-byte Folded Spill
	buffer_store_dword v146, off, s[44:47], 0 offset:816 ; 4-byte Folded Spill
	buffer_store_dword v147, off, s[44:47], 0 offset:820 ; 4-byte Folded Spill
	v_fmac_f64_e32 v[116:117], v[118:119], v[144:145]
	v_mul_f64 v[118:119], v[114:115], v[132:133]
	v_fma_f64 v[118:119], v[112:113], v[130:131], -v[118:119]
	v_mul_f64 v[112:113], v[112:113], v[132:133]
	buffer_store_dword v130, off, s[44:47], 0 offset:824 ; 4-byte Folded Spill
	s_nop 0
	buffer_store_dword v131, off, s[44:47], 0 offset:828 ; 4-byte Folded Spill
	buffer_store_dword v132, off, s[44:47], 0 offset:832 ; 4-byte Folded Spill
	buffer_store_dword v133, off, s[44:47], 0 offset:836 ; 4-byte Folded Spill
	v_fmac_f64_e32 v[112:113], v[114:115], v[130:131]
	;; [unrolled: 9-line block ×3, first 2 shown]
	s_waitcnt lgkmcnt(13)
	v_mul_f64 v[110:111], v[106:107], v[124:125]
	v_fma_f64 v[110:111], v[104:105], v[122:123], -v[110:111]
	v_mul_f64 v[104:105], v[104:105], v[124:125]
	buffer_store_dword v122, off, s[44:47], 0 offset:860 ; 4-byte Folded Spill
	s_nop 0
	buffer_store_dword v123, off, s[44:47], 0 offset:864 ; 4-byte Folded Spill
	buffer_store_dword v124, off, s[44:47], 0 offset:868 ; 4-byte Folded Spill
	;; [unrolled: 1-line block ×3, first 2 shown]
	v_fmac_f64_e32 v[104:105], v[106:107], v[122:123]
	global_load_dwordx4 v[122:125], v142, s[10:11] offset:144
	global_load_dwordx4 v[126:129], v142, s[10:11] offset:128
	s_waitcnt vmcnt(1)
	v_accvgpr_write_b32 a4, v122
	s_waitcnt vmcnt(0) lgkmcnt(12)
	v_mul_f64 v[106:107], v[102:103], v[128:129]
	v_fma_f64 v[106:107], v[100:101], v[126:127], -v[106:107]
	v_mul_f64 v[100:101], v[100:101], v[128:129]
	v_fmac_f64_e32 v[100:101], v[102:103], v[126:127]
	s_waitcnt lgkmcnt(11)
	v_mul_f64 v[102:103], v[98:99], v[124:125]
	v_fma_f64 v[102:103], v[96:97], v[122:123], -v[102:103]
	v_mul_f64 v[96:97], v[96:97], v[124:125]
	v_accvgpr_write_b32 a5, v123
	v_accvgpr_write_b32 a6, v124
	;; [unrolled: 1-line block ×3, first 2 shown]
	v_fmac_f64_e32 v[96:97], v[98:99], v[122:123]
	v_accvgpr_read_b32 v122, a102
	v_mul_lo_u16_sdwa v98, v122, v176 dst_sel:DWORD dst_unused:UNUSED_PAD src0_sel:BYTE_0 src1_sel:DWORD
	v_sub_u16_sdwa v99, v122, v98 dst_sel:DWORD dst_unused:UNUSED_PAD src0_sel:DWORD src1_sel:BYTE_1
	v_lshrrev_b16_e32 v99, 1, v99
	v_and_b32_e32 v99, 0x7f, v99
	v_add_u16_sdwa v98, v99, v98 dst_sel:DWORD dst_unused:UNUSED_PAD src0_sel:DWORD src1_sel:BYTE_1
	v_lshrrev_b16_e32 v99, 2, v98
	v_mul_lo_u16_e32 v98, 7, v99
	v_sub_u16_e32 v98, v122, v98
	v_and_b32_e32 v179, 0xff, v98
	v_mul_u32_u24_e32 v98, 10, v179
	v_accvgpr_write_b32 a8, v126
	v_lshlrev_b32_e32 v122, 4, v98
	v_accvgpr_write_b32 a9, v127
	v_accvgpr_write_b32 a10, v128
	;; [unrolled: 1-line block ×3, first 2 shown]
	global_load_dwordx4 v[124:127], v122, s[10:11] offset:48
	global_load_dwordx4 v[128:131], v122, s[10:11] offset:32
	global_load_dwordx4 v[132:135], v122, s[10:11] offset:16
	global_load_dwordx4 v[142:145], v122, s[10:11]
	v_accvgpr_write_b32 a45, v99
	s_waitcnt vmcnt(3)
	v_accvgpr_write_b32 a12, v124
	s_waitcnt vmcnt(2) lgkmcnt(7)
	v_mul_f64 v[184:185], v[80:81], v[130:131]
	s_waitcnt vmcnt(1)
	v_mul_f64 v[192:193], v[84:85], v[134:135]
	s_waitcnt vmcnt(0)
	v_mul_f64 v[98:99], v[94:95], v[144:145]
	v_fma_f64 v[200:201], v[92:93], v[142:143], -v[98:99]
	v_mul_f64 v[198:199], v[92:93], v[144:145]
	v_mul_f64 v[92:93], v[86:87], v[134:135]
	v_fma_f64 v[194:195], v[84:85], v[132:133], -v[92:93]
	v_accvgpr_write_b32 a20, v132
	v_mul_f64 v[84:85], v[82:83], v[130:131]
	v_accvgpr_write_b32 a21, v133
	v_accvgpr_write_b32 a22, v134
	;; [unrolled: 1-line block ×3, first 2 shown]
	v_fmac_f64_e32 v[192:193], v[86:87], v[132:133]
	v_fma_f64 v[186:187], v[80:81], v[128:129], -v[84:85]
	v_accvgpr_write_b32 a16, v128
	s_waitcnt lgkmcnt(6)
	v_mul_f64 v[80:81], v[78:79], v[126:127]
	v_mul_f64 v[132:133], v[76:77], v[126:127]
	v_fmac_f64_e32 v[198:199], v[94:95], v[142:143]
	v_accvgpr_write_b32 a17, v129
	v_accvgpr_write_b32 a18, v130
	;; [unrolled: 1-line block ×3, first 2 shown]
	v_fmac_f64_e32 v[184:185], v[82:83], v[128:129]
	v_fma_f64 v[134:135], v[76:77], v[124:125], -v[80:81]
	v_fmac_f64_e32 v[132:133], v[78:79], v[124:125]
	global_load_dwordx4 v[78:81], v122, s[10:11] offset:112
	global_load_dwordx4 v[82:85], v122, s[10:11] offset:96
	;; [unrolled: 1-line block ×4, first 2 shown]
	v_accvgpr_write_b32 a13, v125
	v_accvgpr_write_b32 a14, v126
	;; [unrolled: 1-line block ×7, first 2 shown]
	s_waitcnt vmcnt(3) lgkmcnt(2)
	v_mul_f64 v[188:189], v[52:53], v[80:81]
	s_waitcnt vmcnt(2)
	v_mul_f64 v[180:181], v[64:65], v[84:85]
	v_fmac_f64_e32 v[180:181], v[66:67], v[82:83]
	s_waitcnt vmcnt(0)
	v_mul_f64 v[76:77], v[74:75], v[130:131]
	v_fma_f64 v[126:127], v[72:73], v[128:129], -v[76:77]
	v_mul_f64 v[124:125], v[72:73], v[130:131]
	v_accvgpr_write_b32 a40, v128
	v_mul_f64 v[72:73], v[70:71], v[94:95]
	v_accvgpr_write_b32 a41, v129
	v_accvgpr_write_b32 a42, v130
	;; [unrolled: 1-line block ×3, first 2 shown]
	v_fmac_f64_e32 v[124:125], v[74:75], v[128:129]
	v_fma_f64 v[130:131], v[68:69], v[92:93], -v[72:73]
	v_mul_f64 v[128:129], v[68:69], v[94:95]
	v_mul_f64 v[68:69], v[66:67], v[84:85]
	v_fma_f64 v[182:183], v[64:65], v[82:83], -v[68:69]
	v_mul_f64 v[64:65], v[54:55], v[80:81]
	v_fmac_f64_e32 v[128:129], v[70:71], v[92:93]
	v_fma_f64 v[190:191], v[52:53], v[78:79], -v[64:65]
	global_load_dwordx4 v[64:67], v122, s[10:11] offset:144
	global_load_dwordx4 v[68:71], v122, s[10:11] offset:128
	v_fmac_f64_e32 v[188:189], v[54:55], v[78:79]
	v_accvgpr_write_b32 a28, v78
	v_accvgpr_write_b32 a32, v82
	;; [unrolled: 1-line block ×12, first 2 shown]
	s_waitcnt vmcnt(1)
	v_accvgpr_write_b32 a46, v64
	s_waitcnt vmcnt(0) lgkmcnt(1)
	v_mul_f64 v[52:53], v[30:31], v[70:71]
	v_fma_f64 v[138:139], v[28:29], v[68:69], -v[52:53]
	v_mul_f64 v[28:29], v[28:29], v[70:71]
	v_fmac_f64_e32 v[28:29], v[30:31], v[68:69]
	s_waitcnt lgkmcnt(0)
	v_mul_f64 v[30:31], v[18:19], v[66:67]
	v_fma_f64 v[202:203], v[16:17], v[64:65], -v[30:31]
	v_mul_f64 v[30:31], v[16:17], v[66:67]
	v_mul_lo_u16_sdwa v16, v178, v176 dst_sel:DWORD dst_unused:UNUSED_PAD src0_sel:BYTE_0 src1_sel:DWORD
	v_sub_u16_sdwa v17, v178, v16 dst_sel:DWORD dst_unused:UNUSED_PAD src0_sel:DWORD src1_sel:BYTE_1
	v_lshrrev_b16_e32 v17, 1, v17
	v_and_b32_e32 v17, 0x7f, v17
	v_add_u16_sdwa v16, v17, v16 dst_sel:DWORD dst_unused:UNUSED_PAD src0_sel:DWORD src1_sel:BYTE_1
	v_lshrrev_b16_e32 v16, 2, v16
	buffer_store_dword v16, off, s[44:47], 0 offset:96 ; 4-byte Folded Spill
	v_mul_lo_u16_e32 v16, 7, v16
	v_sub_u16_e32 v16, v178, v16
	v_and_b32_e32 v16, 0xff, v16
	buffer_store_dword v16, off, s[44:47], 0 offset:212 ; 4-byte Folded Spill
	v_mul_u32_u24_e32 v16, 10, v16
	v_accvgpr_write_b32 a50, v68
	v_fmac_f64_e32 v[30:31], v[18:19], v[64:65]
	v_lshlrev_b32_e32 v18, 4, v16
	v_accvgpr_write_b32 a51, v69
	v_accvgpr_write_b32 a52, v70
	;; [unrolled: 1-line block ×6, first 2 shown]
	global_load_dwordx4 v[72:75], v18, s[10:11] offset:48
	global_load_dwordx4 v[68:71], v18, s[10:11] offset:32
	;; [unrolled: 1-line block ×3, first 2 shown]
	global_load_dwordx4 v[64:67], v18, s[10:11]
	s_waitcnt vmcnt(3)
	v_mul_f64 v[150:151], v[56:57], v[74:75]
	s_waitcnt vmcnt(2)
	v_mul_f64 v[148:149], v[48:49], v[70:71]
	;; [unrolled: 2-line block ×4, first 2 shown]
	v_fma_f64 v[144:145], v[60:61], v[64:65], -v[16:17]
	v_mul_f64 v[16:17], v[46:47], v[54:55]
	v_fma_f64 v[152:153], v[44:45], v[52:53], -v[16:17]
	v_mul_f64 v[16:17], v[50:51], v[70:71]
	;; [unrolled: 2-line block ×3, first 2 shown]
	v_mul_f64 v[142:143], v[60:61], v[66:67]
	buffer_store_dword v64, off, s[44:47], 0 offset:876 ; 4-byte Folded Spill
	s_nop 0
	buffer_store_dword v65, off, s[44:47], 0 offset:880 ; 4-byte Folded Spill
	buffer_store_dword v66, off, s[44:47], 0 offset:884 ; 4-byte Folded Spill
	buffer_store_dword v67, off, s[44:47], 0 offset:888 ; 4-byte Folded Spill
	buffer_store_dword v52, off, s[44:47], 0 offset:892 ; 4-byte Folded Spill
	s_nop 0
	buffer_store_dword v53, off, s[44:47], 0 offset:896 ; 4-byte Folded Spill
	buffer_store_dword v54, off, s[44:47], 0 offset:900 ; 4-byte Folded Spill
	buffer_store_dword v55, off, s[44:47], 0 offset:904 ; 4-byte Folded Spill
	buffer_store_dword v68, off, s[44:47], 0 offset:908 ; 4-byte Folded Spill
	s_nop 0
	buffer_store_dword v69, off, s[44:47], 0 offset:912 ; 4-byte Folded Spill
	buffer_store_dword v70, off, s[44:47], 0 offset:916 ; 4-byte Folded Spill
	buffer_store_dword v71, off, s[44:47], 0 offset:920 ; 4-byte Folded Spill
	v_fma_f64 v[156:157], v[56:57], v[72:73], -v[16:17]
	buffer_store_dword v72, off, s[44:47], 0 offset:924 ; 4-byte Folded Spill
	s_nop 0
	buffer_store_dword v73, off, s[44:47], 0 offset:928 ; 4-byte Folded Spill
	buffer_store_dword v74, off, s[44:47], 0 offset:932 ; 4-byte Folded Spill
	;; [unrolled: 1-line block ×3, first 2 shown]
	v_add_f64 v[74:75], v[230:231], v[234:235]
	v_accvgpr_write_b32 a78, v144
	v_accvgpr_write_b32 a79, v145
	v_accvgpr_write_b32 a80, v152
	v_accvgpr_write_b32 a81, v153
	v_accvgpr_write_b32 a82, v154
	v_accvgpr_write_b32 a83, v155
	v_accvgpr_write_b32 a84, v156
	v_accvgpr_write_b32 a85, v157
	v_fmac_f64_e32 v[142:143], v[62:63], v[64:65]
	v_fmac_f64_e32 v[146:147], v[46:47], v[52:53]
	;; [unrolled: 1-line block ×4, first 2 shown]
	global_load_dwordx4 v[44:47], v18, s[10:11] offset:112
	global_load_dwordx4 v[48:51], v18, s[10:11] offset:96
	;; [unrolled: 1-line block ×4, first 2 shown]
	s_waitcnt vmcnt(3)
	v_mul_f64 v[166:167], v[40:41], v[46:47]
	s_waitcnt vmcnt(2)
	v_mul_f64 v[164:165], v[32:33], v[50:51]
	s_waitcnt vmcnt(1)
	v_mul_f64 v[162:163], v[20:21], v[54:55]
	s_waitcnt vmcnt(0)
	v_mul_f64 v[16:17], v[6:7], v[58:59]
	v_fma_f64 v[16:17], v[4:5], v[56:57], -v[16:17]
	v_mul_f64 v[158:159], v[4:5], v[58:59]
	v_mul_f64 v[4:5], v[22:23], v[54:55]
	buffer_store_dword v56, off, s[44:47], 0 offset:988 ; 4-byte Folded Spill
	s_nop 0
	buffer_store_dword v57, off, s[44:47], 0 offset:992 ; 4-byte Folded Spill
	buffer_store_dword v58, off, s[44:47], 0 offset:996 ; 4-byte Folded Spill
	;; [unrolled: 1-line block ×3, first 2 shown]
	v_fma_f64 v[4:5], v[20:21], v[52:53], -v[4:5]
	buffer_store_dword v52, off, s[44:47], 0 offset:1020 ; 4-byte Folded Spill
	s_nop 0
	buffer_store_dword v53, off, s[44:47], 0 offset:1024 ; 4-byte Folded Spill
	buffer_store_dword v54, off, s[44:47], 0 offset:1028 ; 4-byte Folded Spill
	buffer_store_dword v55, off, s[44:47], 0 offset:1032 ; 4-byte Folded Spill
	v_accvgpr_write_b32 a55, v5
	v_accvgpr_write_b32 a54, v4
	v_mul_f64 v[4:5], v[34:35], v[50:51]
	v_fma_f64 v[160:161], v[32:33], v[48:49], -v[4:5]
	v_mul_f64 v[4:5], v[42:43], v[46:47]
	v_accvgpr_write_b32 a57, v17
	buffer_store_dword v48, off, s[44:47], 0 offset:972 ; 4-byte Folded Spill
	s_nop 0
	buffer_store_dword v49, off, s[44:47], 0 offset:976 ; 4-byte Folded Spill
	buffer_store_dword v50, off, s[44:47], 0 offset:980 ; 4-byte Folded Spill
	;; [unrolled: 1-line block ×3, first 2 shown]
	v_fma_f64 v[168:169], v[40:41], v[44:45], -v[4:5]
	buffer_store_dword v44, off, s[44:47], 0 offset:940 ; 4-byte Folded Spill
	s_nop 0
	buffer_store_dword v45, off, s[44:47], 0 offset:944 ; 4-byte Folded Spill
	buffer_store_dword v46, off, s[44:47], 0 offset:948 ; 4-byte Folded Spill
	;; [unrolled: 1-line block ×3, first 2 shown]
	v_accvgpr_write_b32 a56, v16
	v_accvgpr_write_b32 a88, v168
	;; [unrolled: 1-line block ×5, first 2 shown]
	v_fmac_f64_e32 v[158:159], v[6:7], v[56:57]
	v_add_f64 v[6:7], v[14:15], v[254:255]
	v_fmac_f64_e32 v[162:163], v[22:23], v[52:53]
	global_load_dwordx4 v[20:23], v18, s[10:11] offset:144
	s_nop 0
	global_load_dwordx4 v[16:19], v18, s[10:11] offset:128
	v_add_f64 v[6:7], v[6:7], v[246:247]
	v_add_f64 v[6:7], v[6:7], v[238:239]
	;; [unrolled: 1-line block ×5, first 2 shown]
	v_fmac_f64_e32 v[164:165], v[34:35], v[48:49]
	v_add_f64 v[6:7], v[6:7], v[234:235]
	v_fmac_f64_e32 v[166:167], v[42:43], v[44:45]
	v_add_f64 v[6:7], v[6:7], v[242:243]
	v_add_f64 v[6:7], v[6:7], v[250:251]
	v_add_f64 v[6:7], v[6:7], v[136:137]
	s_waitcnt vmcnt(1)
	v_mul_f64 v[174:175], v[36:37], v[22:23]
	s_waitcnt vmcnt(0)
	v_mul_f64 v[4:5], v[26:27], v[18:19]
	v_fma_f64 v[170:171], v[24:25], v[16:17], -v[4:5]
	v_mul_f64 v[4:5], v[38:39], v[22:23]
	v_mul_f64 v[172:173], v[24:25], v[18:19]
	buffer_store_dword v16, off, s[44:47], 0 offset:1004 ; 4-byte Folded Spill
	s_nop 0
	buffer_store_dword v17, off, s[44:47], 0 offset:1008 ; 4-byte Folded Spill
	buffer_store_dword v18, off, s[44:47], 0 offset:1012 ; 4-byte Folded Spill
	;; [unrolled: 1-line block ×3, first 2 shown]
	v_fma_f64 v[176:177], v[36:37], v[20:21], -v[4:5]
	buffer_store_dword v20, off, s[44:47], 0 offset:956 ; 4-byte Folded Spill
	s_nop 0
	buffer_store_dword v21, off, s[44:47], 0 offset:960 ; 4-byte Folded Spill
	buffer_store_dword v22, off, s[44:47], 0 offset:964 ; 4-byte Folded Spill
	;; [unrolled: 1-line block ×3, first 2 shown]
	v_add_f64 v[22:23], v[254:255], -v[136:137]
	v_mul_f64 v[24:25], v[22:23], s[26:27]
	v_mul_f64 v[36:37], v[22:23], s[38:39]
	v_mul_f64 v[44:45], v[22:23], s[22:23]
	v_mul_f64 v[52:53], v[22:23], s[24:25]
	v_mul_f64 v[22:23], v[22:23], s[28:29]
	v_add_f64 v[18:19], v[254:255], v[136:137]
	v_add_f64 v[4:5], v[12:13], v[220:221]
	;; [unrolled: 1-line block ×11, first 2 shown]
	v_add_f64 v[254:255], v[156:157], -v[160:161]
	s_waitcnt lgkmcnt(0)
	; wave barrier
	v_accvgpr_write_b32 a92, v176
	v_accvgpr_write_b32 a90, v170
	;; [unrolled: 1-line block ×4, first 2 shown]
	v_fmac_f64_e32 v[172:173], v[26:27], v[16:17]
	v_add_f64 v[16:17], v[220:221], v[140:141]
	v_fmac_f64_e32 v[174:175], v[38:39], v[20:21]
	v_add_f64 v[20:21], v[220:221], -v[140:141]
	v_fma_f64 v[26:27], v[16:17], s[2:3], -v[24:25]
	v_mul_f64 v[32:33], v[20:21], s[26:27]
	v_fmac_f64_e32 v[24:25], s[2:3], v[16:17]
	v_fma_f64 v[38:39], v[16:17], s[14:15], -v[36:37]
	v_mul_f64 v[40:41], v[20:21], s[38:39]
	v_fmac_f64_e32 v[36:37], s[14:15], v[16:17]
	;; [unrolled: 3-line block ×5, first 2 shown]
	v_add_f64 v[26:27], v[12:13], v[26:27]
	v_fma_f64 v[34:35], s[2:3], v[18:19], v[32:33]
	v_add_f64 v[24:25], v[12:13], v[24:25]
	v_fma_f64 v[32:33], v[18:19], s[2:3], -v[32:33]
	v_add_f64 v[38:39], v[12:13], v[38:39]
	v_fma_f64 v[42:43], s[14:15], v[18:19], v[40:41]
	v_add_f64 v[36:37], v[12:13], v[36:37]
	v_fma_f64 v[40:41], v[18:19], s[14:15], -v[40:41]
	;; [unrolled: 4-line block ×5, first 2 shown]
	v_add_f64 v[22:23], v[246:247], -v[250:251]
	v_add_f64 v[34:35], v[14:15], v[34:35]
	v_add_f64 v[32:33], v[14:15], v[32:33]
	;; [unrolled: 1-line block ×11, first 2 shown]
	v_mul_f64 v[64:65], v[22:23], s[38:39]
	v_add_f64 v[20:21], v[248:249], -v[252:253]
	v_fma_f64 v[66:67], v[16:17], s[14:15], -v[64:65]
	v_add_f64 v[18:19], v[246:247], v[250:251]
	v_add_f64 v[26:27], v[66:67], v[26:27]
	v_mul_f64 v[66:67], v[20:21], s[38:39]
	v_fmac_f64_e32 v[64:65], s[14:15], v[16:17]
	v_add_f64 v[24:25], v[64:65], v[24:25]
	v_fma_f64 v[64:65], v[18:19], s[14:15], -v[66:67]
	v_add_f64 v[32:33], v[64:65], v[32:33]
	v_mul_f64 v[64:65], v[22:23], s[24:25]
	v_fma_f64 v[68:69], s[14:15], v[18:19], v[66:67]
	v_fma_f64 v[66:67], v[16:17], s[18:19], -v[64:65]
	v_add_f64 v[38:39], v[66:67], v[38:39]
	v_mul_f64 v[66:67], v[20:21], s[24:25]
	v_fmac_f64_e32 v[64:65], s[18:19], v[16:17]
	v_add_f64 v[36:37], v[64:65], v[36:37]
	v_fma_f64 v[64:65], v[18:19], s[18:19], -v[66:67]
	v_add_f64 v[40:41], v[64:65], v[40:41]
	v_mul_f64 v[64:65], v[22:23], s[40:41]
	v_add_f64 v[34:35], v[68:69], v[34:35]
	v_fma_f64 v[68:69], s[18:19], v[18:19], v[66:67]
	v_fma_f64 v[66:67], v[16:17], s[20:21], -v[64:65]
	v_add_f64 v[46:47], v[66:67], v[46:47]
	v_mul_f64 v[66:67], v[20:21], s[40:41]
	v_fmac_f64_e32 v[64:65], s[20:21], v[16:17]
	v_add_f64 v[44:45], v[64:65], v[44:45]
	v_fma_f64 v[64:65], v[18:19], s[20:21], -v[66:67]
	v_add_f64 v[48:49], v[64:65], v[48:49]
	v_mul_f64 v[64:65], v[22:23], s[36:37]
	v_add_f64 v[42:43], v[68:69], v[42:43]
	v_fma_f64 v[68:69], s[20:21], v[18:19], v[66:67]
	v_fma_f64 v[66:67], v[16:17], s[16:17], -v[64:65]
	v_add_f64 v[54:55], v[66:67], v[54:55]
	v_mul_f64 v[66:67], v[20:21], s[36:37]
	v_fmac_f64_e32 v[64:65], s[16:17], v[16:17]
	v_add_f64 v[52:53], v[64:65], v[52:53]
	v_fma_f64 v[64:65], v[18:19], s[16:17], -v[66:67]
	v_mul_f64 v[22:23], v[22:23], s[34:35]
	v_add_f64 v[56:57], v[64:65], v[56:57]
	v_fma_f64 v[64:65], v[16:17], s[2:3], -v[22:23]
	v_mul_f64 v[20:21], v[20:21], s[34:35]
	v_fmac_f64_e32 v[22:23], s[2:3], v[16:17]
	v_add_f64 v[60:61], v[64:65], v[60:61]
	v_fma_f64 v[64:65], s[2:3], v[18:19], v[20:21]
	v_add_f64 v[12:13], v[22:23], v[12:13]
	v_fma_f64 v[16:17], v[18:19], s[2:3], -v[20:21]
	v_add_f64 v[22:23], v[238:239], -v[242:243]
	v_add_f64 v[62:63], v[64:65], v[62:63]
	v_add_f64 v[14:15], v[16:17], v[14:15]
	;; [unrolled: 1-line block ×3, first 2 shown]
	v_mul_f64 v[64:65], v[22:23], s[22:23]
	v_add_f64 v[50:51], v[68:69], v[50:51]
	v_fma_f64 v[68:69], s[16:17], v[18:19], v[66:67]
	v_add_f64 v[20:21], v[240:241], -v[244:245]
	v_fma_f64 v[66:67], v[16:17], s[16:17], -v[64:65]
	v_add_f64 v[18:19], v[238:239], v[242:243]
	v_add_f64 v[26:27], v[66:67], v[26:27]
	v_mul_f64 v[66:67], v[20:21], s[22:23]
	v_fmac_f64_e32 v[64:65], s[16:17], v[16:17]
	v_add_f64 v[24:25], v[64:65], v[24:25]
	v_fma_f64 v[64:65], v[18:19], s[16:17], -v[66:67]
	v_add_f64 v[32:33], v[64:65], v[32:33]
	v_mul_f64 v[64:65], v[22:23], s[40:41]
	v_add_f64 v[58:59], v[68:69], v[58:59]
	v_fma_f64 v[68:69], s[16:17], v[18:19], v[66:67]
	v_fma_f64 v[66:67], v[16:17], s[20:21], -v[64:65]
	v_add_f64 v[38:39], v[66:67], v[38:39]
	v_mul_f64 v[66:67], v[20:21], s[40:41]
	v_fmac_f64_e32 v[64:65], s[20:21], v[16:17]
	v_add_f64 v[36:37], v[64:65], v[36:37]
	v_fma_f64 v[64:65], v[18:19], s[20:21], -v[66:67]
	v_add_f64 v[40:41], v[64:65], v[40:41]
	v_mul_f64 v[64:65], v[22:23], s[30:31]
	v_add_f64 v[34:35], v[68:69], v[34:35]
	v_fma_f64 v[68:69], s[20:21], v[18:19], v[66:67]
	v_fma_f64 v[66:67], v[16:17], s[14:15], -v[64:65]
	;; [unrolled: 10-line block ×3, first 2 shown]
	v_add_f64 v[66:67], v[66:67], v[54:55]
	v_mul_f64 v[54:55], v[20:21], s[26:27]
	v_fmac_f64_e32 v[64:65], s[2:3], v[16:17]
	v_add_f64 v[64:65], v[64:65], v[52:53]
	v_fma_f64 v[52:53], v[18:19], s[2:3], -v[54:55]
	v_mul_f64 v[22:23], v[22:23], s[24:25]
	v_add_f64 v[50:51], v[68:69], v[50:51]
	v_fma_f64 v[68:69], s[2:3], v[18:19], v[54:55]
	v_add_f64 v[56:57], v[52:53], v[56:57]
	v_fma_f64 v[52:53], v[16:17], s[18:19], -v[22:23]
	v_mul_f64 v[20:21], v[20:21], s[24:25]
	v_add_f64 v[58:59], v[68:69], v[58:59]
	v_add_f64 v[68:69], v[52:53], v[60:61]
	v_fma_f64 v[52:53], s[18:19], v[18:19], v[20:21]
	v_fmac_f64_e32 v[22:23], s[18:19], v[16:17]
	v_fma_f64 v[16:17], v[18:19], s[18:19], -v[20:21]
	v_add_f64 v[18:19], v[230:231], -v[234:235]
	v_add_f64 v[72:73], v[16:17], v[14:15]
	v_add_f64 v[14:15], v[232:233], v[236:237]
	v_mul_f64 v[20:21], v[18:19], s[24:25]
	v_add_f64 v[12:13], v[22:23], v[12:13]
	v_add_f64 v[16:17], v[232:233], -v[236:237]
	v_fma_f64 v[22:23], v[14:15], s[18:19], -v[20:21]
	v_add_f64 v[76:77], v[22:23], v[26:27]
	v_mul_f64 v[22:23], v[16:17], s[24:25]
	v_fmac_f64_e32 v[20:21], s[18:19], v[14:15]
	v_add_f64 v[80:81], v[20:21], v[24:25]
	v_fma_f64 v[20:21], v[74:75], s[18:19], -v[22:23]
	v_add_f64 v[82:83], v[20:21], v[32:33]
	v_mul_f64 v[20:21], v[18:19], s[36:37]
	v_fma_f64 v[26:27], s[18:19], v[74:75], v[22:23]
	v_fma_f64 v[22:23], v[14:15], s[16:17], -v[20:21]
	v_add_f64 v[84:85], v[22:23], v[38:39]
	v_mul_f64 v[22:23], v[16:17], s[36:37]
	v_fmac_f64_e32 v[20:21], s[16:17], v[14:15]
	v_add_f64 v[70:71], v[52:53], v[62:63]
	v_add_f64 v[52:53], v[20:21], v[36:37]
	v_fma_f64 v[20:21], v[74:75], s[16:17], -v[22:23]
	v_add_f64 v[54:55], v[20:21], v[40:41]
	v_mul_f64 v[20:21], v[18:19], s[26:27]
	v_fma_f64 v[24:25], s[16:17], v[74:75], v[22:23]
	v_fma_f64 v[22:23], v[14:15], s[2:3], -v[20:21]
	v_add_f64 v[60:61], v[22:23], v[46:47]
	v_mul_f64 v[22:23], v[16:17], s[26:27]
	v_fmac_f64_e32 v[20:21], s[2:3], v[14:15]
	v_add_f64 v[40:41], v[20:21], v[44:45]
	v_fma_f64 v[20:21], v[74:75], s[2:3], -v[22:23]
	v_add_f64 v[86:87], v[24:25], v[42:43]
	v_fma_f64 v[24:25], s[2:3], v[74:75], v[22:23]
	v_add_f64 v[38:39], v[20:21], v[48:49]
	v_mul_f64 v[20:21], v[18:19], s[28:29]
	v_add_f64 v[62:63], v[24:25], v[50:51]
	v_fma_f64 v[22:23], v[14:15], s[20:21], -v[20:21]
	v_mul_f64 v[24:25], v[16:17], s[28:29]
	v_add_f64 v[78:79], v[26:27], v[34:35]
	v_add_f64 v[34:35], v[22:23], v[66:67]
	v_fma_f64 v[22:23], s[20:21], v[74:75], v[24:25]
	v_fmac_f64_e32 v[20:21], s[20:21], v[14:15]
	v_add_f64 v[26:27], v[22:23], v[58:59]
	v_add_f64 v[22:23], v[20:21], v[64:65]
	v_fma_f64 v[20:21], v[74:75], s[20:21], -v[24:25]
	v_mul_f64 v[24:25], v[18:19], s[30:31]
	v_fma_f64 v[18:19], v[14:15], s[14:15], -v[24:25]
	v_mul_f64 v[32:33], v[16:17], s[30:31]
	v_fmac_f64_e32 v[24:25], s[14:15], v[14:15]
	v_add_f64 v[42:43], v[222:223], -v[226:227]
	v_fma_f64 v[16:17], s[14:15], v[74:75], v[32:33]
	v_add_f64 v[14:15], v[24:25], v[12:13]
	v_fma_f64 v[12:13], v[74:75], s[14:15], -v[32:33]
	v_add_f64 v[32:33], v[224:225], v[228:229]
	v_add_f64 v[36:37], v[224:225], -v[228:229]
	v_mul_f64 v[64:65], v[42:43], s[34:35]
	v_add_f64 v[20:21], v[20:21], v[56:57]
	v_add_f64 v[24:25], v[222:223], v[226:227]
	v_fma_f64 v[56:57], v[32:33], s[2:3], -v[64:65]
	v_mul_f64 v[66:67], v[36:37], s[34:35]
	v_fmac_f64_e32 v[64:65], s[2:3], v[32:33]
	v_add_f64 v[52:53], v[64:65], v[52:53]
	v_fma_f64 v[64:65], v[24:25], s[2:3], -v[66:67]
	v_add_f64 v[54:55], v[64:65], v[54:55]
	v_mul_f64 v[64:65], v[42:43], s[24:25]
	v_fma_f64 v[58:59], s[2:3], v[24:25], v[66:67]
	v_fma_f64 v[66:67], v[32:33], s[18:19], -v[64:65]
	v_add_f64 v[60:61], v[66:67], v[60:61]
	v_mul_f64 v[66:67], v[36:37], s[24:25]
	v_fmac_f64_e32 v[64:65], s[18:19], v[32:33]
	v_add_f64 v[64:65], v[64:65], v[40:41]
	v_fma_f64 v[40:41], v[24:25], s[18:19], -v[66:67]
	v_add_f64 v[18:19], v[18:19], v[68:69]
	v_fma_f64 v[68:69], s[18:19], v[24:25], v[66:67]
	v_add_f64 v[66:67], v[40:41], v[38:39]
	v_mul_f64 v[38:39], v[42:43], s[30:31]
	v_fma_f64 v[40:41], v[32:33], s[14:15], -v[38:39]
	v_add_f64 v[62:63], v[68:69], v[62:63]
	v_add_f64 v[68:69], v[40:41], v[34:35]
	v_mul_f64 v[34:35], v[36:37], s[30:31]
	v_fmac_f64_e32 v[38:39], s[14:15], v[32:33]
	v_add_f64 v[12:13], v[12:13], v[72:73]
	v_add_f64 v[72:73], v[38:39], v[22:23]
	v_fma_f64 v[22:23], v[24:25], s[14:15], -v[34:35]
	v_mul_f64 v[44:45], v[42:43], s[28:29]
	v_add_f64 v[74:75], v[22:23], v[20:21]
	v_mul_f64 v[20:21], v[42:43], s[22:23]
	v_fma_f64 v[46:47], v[32:33], s[20:21], -v[44:45]
	v_fma_f64 v[22:23], v[32:33], s[16:17], -v[20:21]
	v_add_f64 v[48:49], v[46:47], v[76:77]
	v_mul_f64 v[46:47], v[36:37], s[28:29]
	v_fmac_f64_e32 v[44:45], s[20:21], v[32:33]
	v_add_f64 v[76:77], v[22:23], v[18:19]
	v_mul_f64 v[18:19], v[36:37], s[22:23]
	v_fmac_f64_e32 v[20:21], s[16:17], v[32:33]
	v_fma_f64 v[50:51], s[20:21], v[24:25], v[46:47]
	v_add_f64 v[44:45], v[44:45], v[80:81]
	v_fma_f64 v[46:47], v[24:25], s[20:21], -v[46:47]
	v_add_f64 v[80:81], v[20:21], v[14:15]
	v_fma_f64 v[14:15], v[24:25], s[16:17], -v[18:19]
	v_add_f64 v[46:47], v[46:47], v[82:83]
	v_add_f64 v[82:83], v[14:15], v[12:13]
	;; [unrolled: 1-line block ×17, first 2 shown]
	v_fma_f64 v[22:23], s[16:17], v[24:25], v[18:19]
	v_add_f64 v[12:13], v[12:13], v[110:111]
	v_add_f64 v[14:15], v[14:15], v[104:105]
	;; [unrolled: 1-line block ×6, first 2 shown]
	v_add_f64 v[16:17], v[216:217], -v[102:103]
	v_add_f64 v[56:57], v[56:57], v[84:85]
	v_add_f64 v[58:59], v[58:59], v[86:87]
	v_fma_f64 v[40:41], s[14:15], v[24:25], v[34:35]
	v_add_f64 v[84:85], v[12:13], v[102:103]
	v_add_f64 v[86:87], v[14:15], v[96:97]
	;; [unrolled: 1-line block ×4, first 2 shown]
	v_add_f64 v[18:19], v[218:219], -v[96:97]
	v_mul_f64 v[24:25], v[16:17], s[26:27]
	v_mul_f64 v[36:37], v[16:17], s[38:39]
	;; [unrolled: 1-line block ×5, first 2 shown]
	v_add_f64 v[70:71], v[40:41], v[26:27]
	v_mul_f64 v[20:21], v[18:19], s[26:27]
	v_fma_f64 v[26:27], s[2:3], v[14:15], v[24:25]
	v_fma_f64 v[24:25], v[14:15], s[2:3], -v[24:25]
	v_mul_f64 v[32:33], v[18:19], s[38:39]
	v_fma_f64 v[38:39], s[14:15], v[14:15], v[36:37]
	v_fma_f64 v[36:37], v[14:15], s[14:15], -v[36:37]
	;; [unrolled: 3-line block ×5, first 2 shown]
	v_add_f64 v[26:27], v[90:91], v[26:27]
	v_add_f64 v[24:25], v[90:91], v[24:25]
	;; [unrolled: 1-line block ×8, first 2 shown]
	v_fma_f64 v[136:137], v[12:13], s[20:21], -v[18:19]
	v_add_f64 v[140:141], v[90:91], v[140:141]
	v_fmac_f64_e32 v[18:19], s[20:21], v[12:13]
	v_add_f64 v[14:15], v[90:91], v[14:15]
	v_add_f64 v[90:91], v[214:215], -v[100:101]
	v_fma_f64 v[22:23], v[12:13], s[2:3], -v[20:21]
	v_fmac_f64_e32 v[20:21], s[2:3], v[12:13]
	v_fma_f64 v[34:35], v[12:13], s[14:15], -v[32:33]
	v_fmac_f64_e32 v[32:33], s[14:15], v[12:13]
	;; [unrolled: 2-line block ×4, first 2 shown]
	v_add_f64 v[12:13], v[88:89], v[18:19]
	v_add_f64 v[16:17], v[212:213], v[106:107]
	;; [unrolled: 1-line block ×3, first 2 shown]
	v_mul_f64 v[100:101], v[90:91], s[38:39]
	v_add_f64 v[22:23], v[88:89], v[22:23]
	v_add_f64 v[20:21], v[88:89], v[20:21]
	;; [unrolled: 1-line block ×9, first 2 shown]
	v_add_f64 v[88:89], v[212:213], -v[106:107]
	v_fma_f64 v[106:107], v[16:17], s[14:15], -v[100:101]
	v_add_f64 v[22:23], v[106:107], v[22:23]
	v_mul_f64 v[106:107], v[88:89], s[38:39]
	v_fmac_f64_e32 v[100:101], s[14:15], v[16:17]
	v_add_f64 v[20:21], v[100:101], v[20:21]
	v_fma_f64 v[100:101], v[18:19], s[14:15], -v[106:107]
	v_add_f64 v[24:25], v[100:101], v[24:25]
	v_mul_f64 v[100:101], v[90:91], s[24:25]
	v_fma_f64 v[212:213], s[14:15], v[18:19], v[106:107]
	v_fma_f64 v[106:107], v[16:17], s[18:19], -v[100:101]
	v_add_f64 v[34:35], v[106:107], v[34:35]
	v_mul_f64 v[106:107], v[88:89], s[24:25]
	v_fmac_f64_e32 v[100:101], s[18:19], v[16:17]
	v_add_f64 v[32:33], v[100:101], v[32:33]
	v_fma_f64 v[100:101], v[18:19], s[18:19], -v[106:107]
	v_add_f64 v[36:37], v[100:101], v[36:37]
	v_mul_f64 v[100:101], v[90:91], s[40:41]
	v_add_f64 v[26:27], v[212:213], v[26:27]
	v_fma_f64 v[212:213], s[18:19], v[18:19], v[106:107]
	v_fma_f64 v[106:107], v[16:17], s[20:21], -v[100:101]
	v_add_f64 v[42:43], v[106:107], v[42:43]
	v_mul_f64 v[106:107], v[88:89], s[40:41]
	v_fmac_f64_e32 v[100:101], s[20:21], v[16:17]
	v_add_f64 v[40:41], v[100:101], v[40:41]
	v_fma_f64 v[100:101], v[18:19], s[20:21], -v[106:107]
	v_add_f64 v[92:93], v[100:101], v[92:93]
	v_mul_f64 v[100:101], v[90:91], s[36:37]
	v_add_f64 v[38:39], v[212:213], v[38:39]
	v_fma_f64 v[212:213], s[20:21], v[18:19], v[106:107]
	v_fma_f64 v[106:107], v[16:17], s[16:17], -v[100:101]
	v_add_f64 v[98:99], v[106:107], v[98:99]
	v_mul_f64 v[106:107], v[88:89], s[36:37]
	v_fmac_f64_e32 v[100:101], s[16:17], v[16:17]
	v_add_f64 v[96:97], v[100:101], v[96:97]
	v_fma_f64 v[100:101], v[18:19], s[16:17], -v[106:107]
	v_mul_f64 v[90:91], v[90:91], s[34:35]
	v_add_f64 v[100:101], v[100:101], v[102:103]
	v_fma_f64 v[102:103], v[16:17], s[2:3], -v[90:91]
	v_mul_f64 v[88:89], v[88:89], s[34:35]
	v_fmac_f64_e32 v[90:91], s[2:3], v[16:17]
	v_add_f64 v[12:13], v[90:91], v[12:13]
	v_fma_f64 v[16:17], v[18:19], s[2:3], -v[88:89]
	v_add_f64 v[90:91], v[210:211], -v[104:105]
	v_add_f64 v[94:95], v[212:213], v[94:95]
	v_fma_f64 v[212:213], s[16:17], v[18:19], v[106:107]
	v_fma_f64 v[106:107], s[2:3], v[18:19], v[88:89]
	v_add_f64 v[14:15], v[16:17], v[14:15]
	v_add_f64 v[16:17], v[208:209], v[110:111]
	;; [unrolled: 1-line block ×3, first 2 shown]
	v_mul_f64 v[104:105], v[90:91], s[22:23]
	v_add_f64 v[88:89], v[208:209], -v[110:111]
	v_fma_f64 v[110:111], v[16:17], s[16:17], -v[104:105]
	v_add_f64 v[22:23], v[110:111], v[22:23]
	v_mul_f64 v[110:111], v[88:89], s[22:23]
	v_fmac_f64_e32 v[104:105], s[16:17], v[16:17]
	v_add_f64 v[20:21], v[104:105], v[20:21]
	v_fma_f64 v[104:105], v[18:19], s[16:17], -v[110:111]
	v_add_f64 v[24:25], v[104:105], v[24:25]
	v_mul_f64 v[104:105], v[90:91], s[40:41]
	v_add_f64 v[102:103], v[102:103], v[136:137]
	v_fma_f64 v[136:137], s[16:17], v[18:19], v[110:111]
	v_fma_f64 v[110:111], v[16:17], s[20:21], -v[104:105]
	v_add_f64 v[34:35], v[110:111], v[34:35]
	v_mul_f64 v[110:111], v[88:89], s[40:41]
	v_fmac_f64_e32 v[104:105], s[20:21], v[16:17]
	v_add_f64 v[32:33], v[104:105], v[32:33]
	v_fma_f64 v[104:105], v[18:19], s[20:21], -v[110:111]
	v_add_f64 v[36:37], v[104:105], v[36:37]
	v_mul_f64 v[104:105], v[90:91], s[30:31]
	v_add_f64 v[26:27], v[136:137], v[26:27]
	v_fma_f64 v[136:137], s[20:21], v[18:19], v[110:111]
	;; [unrolled: 10-line block ×3, first 2 shown]
	v_fma_f64 v[110:111], v[16:17], s[2:3], -v[104:105]
	v_add_f64 v[98:99], v[110:111], v[98:99]
	v_mul_f64 v[110:111], v[88:89], s[26:27]
	v_fmac_f64_e32 v[104:105], s[2:3], v[16:17]
	v_add_f64 v[96:97], v[104:105], v[96:97]
	v_fma_f64 v[104:105], v[18:19], s[2:3], -v[110:111]
	v_mul_f64 v[90:91], v[90:91], s[24:25]
	v_add_f64 v[122:123], v[212:213], v[122:123]
	v_add_f64 v[94:95], v[136:137], v[94:95]
	v_fma_f64 v[136:137], s[2:3], v[18:19], v[110:111]
	v_add_f64 v[110:111], v[104:105], v[100:101]
	v_fma_f64 v[100:101], v[16:17], s[18:19], -v[90:91]
	v_mul_f64 v[88:89], v[88:89], s[24:25]
	v_fmac_f64_e32 v[90:91], s[18:19], v[16:17]
	v_add_f64 v[106:107], v[106:107], v[140:141]
	v_add_f64 v[122:123], v[136:137], v[122:123]
	;; [unrolled: 1-line block ×3, first 2 shown]
	v_fma_f64 v[100:101], s[18:19], v[18:19], v[88:89]
	v_add_f64 v[12:13], v[90:91], v[12:13]
	v_fma_f64 v[16:17], v[18:19], s[18:19], -v[88:89]
	v_add_f64 v[90:91], v[206:207], -v[108:109]
	v_add_f64 v[106:107], v[100:101], v[106:107]
	v_add_f64 v[14:15], v[16:17], v[14:15]
	;; [unrolled: 1-line block ×3, first 2 shown]
	v_mul_f64 v[100:101], v[90:91], s[24:25]
	v_add_f64 v[88:89], v[204:205], -v[114:115]
	v_fma_f64 v[102:103], v[16:17], s[18:19], -v[100:101]
	v_add_f64 v[18:19], v[206:207], v[108:109]
	v_add_f64 v[108:109], v[102:103], v[22:23]
	v_mul_f64 v[22:23], v[88:89], s[24:25]
	v_fmac_f64_e32 v[100:101], s[18:19], v[16:17]
	v_add_f64 v[140:141], v[100:101], v[20:21]
	v_fma_f64 v[20:21], v[18:19], s[18:19], -v[22:23]
	v_add_f64 v[204:205], v[20:21], v[24:25]
	v_mul_f64 v[20:21], v[90:91], s[36:37]
	v_fma_f64 v[102:103], s[18:19], v[18:19], v[22:23]
	v_fma_f64 v[22:23], v[16:17], s[16:17], -v[20:21]
	v_add_f64 v[206:207], v[22:23], v[34:35]
	v_mul_f64 v[22:23], v[88:89], s[36:37]
	v_fmac_f64_e32 v[20:21], s[16:17], v[16:17]
	v_add_f64 v[210:211], v[20:21], v[32:33]
	v_fma_f64 v[20:21], v[18:19], s[16:17], -v[22:23]
	v_add_f64 v[212:213], v[20:21], v[36:37]
	v_mul_f64 v[20:21], v[90:91], s[26:27]
	v_fma_f64 v[24:25], s[16:17], v[18:19], v[22:23]
	v_fma_f64 v[22:23], v[16:17], s[2:3], -v[20:21]
	v_add_f64 v[100:101], v[22:23], v[42:43]
	v_mul_f64 v[22:23], v[88:89], s[26:27]
	v_fmac_f64_e32 v[20:21], s[2:3], v[16:17]
	v_add_f64 v[104:105], v[20:21], v[40:41]
	v_fma_f64 v[20:21], v[18:19], s[2:3], -v[22:23]
	v_add_f64 v[42:43], v[20:21], v[92:93]
	v_mul_f64 v[20:21], v[90:91], s[28:29]
	v_add_f64 v[208:209], v[24:25], v[38:39]
	v_fma_f64 v[24:25], s[2:3], v[18:19], v[22:23]
	v_fma_f64 v[22:23], v[16:17], s[20:21], -v[20:21]
	v_add_f64 v[38:39], v[22:23], v[98:99]
	v_mul_f64 v[22:23], v[88:89], s[28:29]
	v_fmac_f64_e32 v[20:21], s[20:21], v[16:17]
	v_add_f64 v[114:115], v[102:103], v[26:27]
	v_add_f64 v[102:103], v[24:25], v[94:95]
	v_fma_f64 v[24:25], s[20:21], v[18:19], v[22:23]
	v_add_f64 v[26:27], v[20:21], v[96:97]
	v_fma_f64 v[20:21], v[18:19], s[20:21], -v[22:23]
	v_mul_f64 v[32:33], v[90:91], s[30:31]
	v_add_f64 v[34:35], v[24:25], v[122:123]
	v_add_f64 v[24:25], v[20:21], v[110:111]
	v_fma_f64 v[20:21], v[16:17], s[14:15], -v[32:33]
	v_mul_f64 v[36:37], v[88:89], s[30:31]
	v_fmac_f64_e32 v[32:33], s[14:15], v[16:17]
	v_add_f64 v[16:17], v[32:33], v[12:13]
	v_fma_f64 v[12:13], v[18:19], s[14:15], -v[36:37]
	v_add_f64 v[32:33], v[116:117], v[112:113]
	v_add_f64 v[116:117], v[116:117], -v[112:113]
	v_add_f64 v[22:23], v[20:21], v[136:137]
	v_fma_f64 v[20:21], s[14:15], v[18:19], v[36:37]
	v_add_f64 v[18:19], v[12:13], v[14:15]
	v_add_f64 v[36:37], v[120:121], v[118:119]
	v_mul_f64 v[12:13], v[116:117], s[28:29]
	v_add_f64 v[20:21], v[20:21], v[106:107]
	v_fma_f64 v[14:15], v[36:37], s[20:21], -v[12:13]
	v_mul_f64 v[106:107], v[116:117], s[24:25]
	v_add_f64 v[40:41], v[120:121], -v[118:119]
	v_add_f64 v[88:89], v[14:15], v[108:109]
	v_fma_f64 v[108:109], v[36:37], s[18:19], -v[106:107]
	v_add_f64 v[100:101], v[108:109], v[100:101]
	v_mul_f64 v[108:109], v[40:41], s[24:25]
	v_fmac_f64_e32 v[106:107], s[18:19], v[36:37]
	v_add_f64 v[104:105], v[106:107], v[104:105]
	v_fma_f64 v[106:107], v[32:33], s[18:19], -v[108:109]
	v_add_f64 v[106:107], v[106:107], v[42:43]
	v_mul_f64 v[42:43], v[116:117], s[30:31]
	v_fma_f64 v[110:111], s[18:19], v[32:33], v[108:109]
	v_fma_f64 v[108:109], v[36:37], s[14:15], -v[42:43]
	v_mul_f64 v[14:15], v[40:41], s[28:29]
	v_add_f64 v[108:109], v[108:109], v[38:39]
	v_mul_f64 v[38:39], v[40:41], s[30:31]
	v_fmac_f64_e32 v[42:43], s[14:15], v[36:37]
	v_fma_f64 v[90:91], s[20:21], v[32:33], v[14:15]
	v_add_f64 v[112:113], v[42:43], v[26:27]
	v_fma_f64 v[26:27], v[32:33], s[14:15], -v[38:39]
	v_add_f64 v[90:91], v[90:91], v[114:115]
	v_add_f64 v[114:115], v[26:27], v[24:25]
	v_mul_f64 v[24:25], v[116:117], s[22:23]
	v_fma_f64 v[26:27], v[36:37], s[16:17], -v[24:25]
	v_mul_f64 v[92:93], v[116:117], s[34:35]
	v_add_f64 v[116:117], v[26:27], v[22:23]
	v_mul_f64 v[22:23], v[40:41], s[22:23]
	v_fma_f64 v[26:27], s[16:17], v[32:33], v[22:23]
	v_add_f64 v[118:119], v[26:27], v[20:21]
	v_fma_f64 v[20:21], v[32:33], s[16:17], -v[22:23]
	v_add_f64 v[18:19], v[20:21], v[18:19]
	v_add_f64 v[20:21], v[8:9], v[200:201]
	;; [unrolled: 1-line block ×15, first 2 shown]
	v_fma_f64 v[94:95], v[36:37], s[2:3], -v[92:93]
	v_add_f64 v[20:21], v[20:21], v[190:191]
	v_add_f64 v[22:23], v[22:23], v[188:189]
	v_fmac_f64_e32 v[12:13], s[20:21], v[36:37]
	v_fma_f64 v[14:15], v[32:33], s[20:21], -v[14:15]
	v_add_f64 v[96:97], v[94:95], v[206:207]
	v_mul_f64 v[94:95], v[40:41], s[34:35]
	v_fmac_f64_e32 v[24:25], s[16:17], v[36:37]
	v_add_f64 v[20:21], v[20:21], v[138:139]
	v_add_f64 v[22:23], v[22:23], v[28:29]
	v_add_f64 v[26:27], v[198:199], -v[30:31]
	v_add_f64 v[12:13], v[12:13], v[140:141]
	v_add_f64 v[14:15], v[14:15], v[204:205]
	v_fma_f64 v[98:99], s[2:3], v[32:33], v[94:95]
	v_fma_f64 v[94:95], v[32:33], s[2:3], -v[94:95]
	v_add_f64 v[102:103], v[110:111], v[102:103]
	v_fma_f64 v[110:111], s[14:15], v[32:33], v[38:39]
	v_add_f64 v[16:17], v[24:25], v[16:17]
	v_add_f64 v[120:121], v[20:21], v[202:203]
	;; [unrolled: 1-line block ×5, first 2 shown]
	v_add_f64 v[24:25], v[200:201], -v[202:203]
	v_mul_f64 v[30:31], v[26:27], s[26:27]
	v_mul_f64 v[38:39], v[26:27], s[38:39]
	;; [unrolled: 1-line block ×5, first 2 shown]
	v_add_f64 v[98:99], v[98:99], v[208:209]
	v_fmac_f64_e32 v[92:93], s[2:3], v[36:37]
	v_add_f64 v[94:95], v[94:95], v[212:213]
	v_add_f64 v[110:111], v[110:111], v[34:35]
	v_fma_f64 v[32:33], v[20:21], s[2:3], -v[30:31]
	v_mul_f64 v[34:35], v[24:25], s[26:27]
	v_fmac_f64_e32 v[30:31], s[2:3], v[20:21]
	v_fma_f64 v[40:41], v[20:21], s[14:15], -v[38:39]
	v_mul_f64 v[42:43], v[24:25], s[38:39]
	v_fmac_f64_e32 v[38:39], s[14:15], v[20:21]
	;; [unrolled: 3-line block ×5, first 2 shown]
	v_add_f64 v[92:93], v[92:93], v[210:211]
	v_add_f64 v[32:33], v[8:9], v[32:33]
	v_fma_f64 v[36:37], s[2:3], v[22:23], v[34:35]
	v_add_f64 v[30:31], v[8:9], v[30:31]
	v_fma_f64 v[34:35], v[22:23], s[2:3], -v[34:35]
	v_add_f64 v[40:41], v[8:9], v[40:41]
	v_fma_f64 v[136:137], s[14:15], v[22:23], v[42:43]
	v_add_f64 v[38:39], v[8:9], v[38:39]
	v_fma_f64 v[42:43], v[22:23], s[14:15], -v[42:43]
	;; [unrolled: 4-line block ×5, first 2 shown]
	v_add_f64 v[26:27], v[192:193], -v[28:29]
	v_add_f64 v[36:37], v[10:11], v[36:37]
	v_add_f64 v[34:35], v[10:11], v[34:35]
	;; [unrolled: 1-line block ×12, first 2 shown]
	v_mul_f64 v[28:29], v[26:27], s[38:39]
	v_add_f64 v[24:25], v[194:195], -v[138:139]
	v_fma_f64 v[138:139], v[20:21], s[14:15], -v[28:29]
	v_add_f64 v[32:33], v[138:139], v[32:33]
	v_mul_f64 v[138:139], v[24:25], s[38:39]
	v_fmac_f64_e32 v[28:29], s[14:15], v[20:21]
	v_add_f64 v[28:29], v[28:29], v[30:31]
	v_fma_f64 v[30:31], v[22:23], s[14:15], -v[138:139]
	v_add_f64 v[30:31], v[30:31], v[34:35]
	v_mul_f64 v[34:35], v[26:27], s[24:25]
	v_fma_f64 v[192:193], s[14:15], v[22:23], v[138:139]
	v_fma_f64 v[138:139], v[20:21], s[18:19], -v[34:35]
	v_add_f64 v[40:41], v[138:139], v[40:41]
	v_mul_f64 v[138:139], v[24:25], s[24:25]
	v_fmac_f64_e32 v[34:35], s[18:19], v[20:21]
	v_add_f64 v[34:35], v[34:35], v[38:39]
	v_fma_f64 v[38:39], v[22:23], s[18:19], -v[138:139]
	v_add_f64 v[36:37], v[192:193], v[36:37]
	v_fma_f64 v[192:193], s[18:19], v[22:23], v[138:139]
	v_add_f64 v[38:39], v[38:39], v[42:43]
	v_mul_f64 v[42:43], v[26:27], s[40:41]
	v_add_f64 v[136:137], v[192:193], v[136:137]
	v_fma_f64 v[138:139], v[20:21], s[20:21], -v[42:43]
	v_mul_f64 v[192:193], v[24:25], s[40:41]
	v_fmac_f64_e32 v[42:43], s[20:21], v[20:21]
	v_fma_f64 v[194:195], s[20:21], v[22:23], v[192:193]
	v_add_f64 v[42:43], v[42:43], v[140:141]
	v_fma_f64 v[140:141], v[22:23], s[20:21], -v[192:193]
	v_mul_f64 v[192:193], v[26:27], s[36:37]
	v_add_f64 v[138:139], v[138:139], v[198:199]
	v_fma_f64 v[198:199], v[20:21], s[16:17], -v[192:193]
	v_fmac_f64_e32 v[192:193], s[16:17], v[20:21]
	v_mul_f64 v[26:27], v[26:27], s[34:35]
	v_add_f64 v[140:141], v[140:141], v[200:201]
	v_mul_f64 v[200:201], v[24:25], s[36:37]
	v_add_f64 v[192:193], v[192:193], v[204:205]
	v_fma_f64 v[204:205], v[20:21], s[2:3], -v[26:27]
	v_mul_f64 v[24:25], v[24:25], s[34:35]
	v_fmac_f64_e32 v[26:27], s[2:3], v[20:21]
	v_add_f64 v[8:9], v[26:27], v[8:9]
	v_fma_f64 v[20:21], v[22:23], s[2:3], -v[24:25]
	v_add_f64 v[26:27], v[184:185], -v[188:189]
	v_add_f64 v[194:195], v[194:195], v[202:203]
	v_add_f64 v[198:199], v[198:199], v[206:207]
	v_fma_f64 v[202:203], s[16:17], v[22:23], v[200:201]
	v_fma_f64 v[200:201], v[22:23], s[16:17], -v[200:201]
	v_fma_f64 v[206:207], s[2:3], v[22:23], v[24:25]
	v_add_f64 v[10:11], v[20:21], v[10:11]
	v_add_f64 v[20:21], v[186:187], v[190:191]
	;; [unrolled: 1-line block ×3, first 2 shown]
	v_mul_f64 v[184:185], v[26:27], s[22:23]
	v_add_f64 v[24:25], v[186:187], -v[190:191]
	v_fma_f64 v[186:187], v[20:21], s[16:17], -v[184:185]
	v_add_f64 v[32:33], v[186:187], v[32:33]
	v_mul_f64 v[186:187], v[24:25], s[22:23]
	v_fmac_f64_e32 v[184:185], s[16:17], v[20:21]
	v_add_f64 v[28:29], v[184:185], v[28:29]
	v_fma_f64 v[184:185], v[22:23], s[16:17], -v[186:187]
	v_add_f64 v[30:31], v[184:185], v[30:31]
	v_mul_f64 v[184:185], v[26:27], s[40:41]
	v_fma_f64 v[188:189], s[16:17], v[22:23], v[186:187]
	v_fma_f64 v[186:187], v[20:21], s[20:21], -v[184:185]
	v_add_f64 v[40:41], v[186:187], v[40:41]
	v_mul_f64 v[186:187], v[24:25], s[40:41]
	v_fmac_f64_e32 v[184:185], s[20:21], v[20:21]
	v_add_f64 v[34:35], v[184:185], v[34:35]
	v_fma_f64 v[184:185], v[22:23], s[20:21], -v[186:187]
	v_add_f64 v[38:39], v[184:185], v[38:39]
	v_mul_f64 v[184:185], v[26:27], s[30:31]
	v_add_f64 v[36:37], v[188:189], v[36:37]
	v_fma_f64 v[188:189], s[20:21], v[22:23], v[186:187]
	v_fma_f64 v[186:187], v[20:21], s[14:15], -v[184:185]
	v_add_f64 v[138:139], v[186:187], v[138:139]
	v_mul_f64 v[186:187], v[24:25], s[30:31]
	v_fmac_f64_e32 v[184:185], s[14:15], v[20:21]
	v_add_f64 v[42:43], v[184:185], v[42:43]
	v_fma_f64 v[184:185], v[22:23], s[14:15], -v[186:187]
	v_add_f64 v[140:141], v[184:185], v[140:141]
	v_mul_f64 v[184:185], v[26:27], s[26:27]
	v_add_f64 v[136:137], v[188:189], v[136:137]
	v_fma_f64 v[188:189], s[14:15], v[22:23], v[186:187]
	v_fma_f64 v[186:187], v[20:21], s[2:3], -v[184:185]
	v_fmac_f64_e32 v[184:185], s[2:3], v[20:21]
	v_mul_f64 v[26:27], v[26:27], s[24:25]
	v_mul_f64 v[190:191], v[24:25], s[26:27]
	v_add_f64 v[184:185], v[184:185], v[192:193]
	v_fma_f64 v[192:193], v[20:21], s[18:19], -v[26:27]
	v_mul_f64 v[24:25], v[24:25], s[24:25]
	v_fmac_f64_e32 v[26:27], s[18:19], v[20:21]
	v_add_f64 v[8:9], v[26:27], v[8:9]
	v_fma_f64 v[20:21], v[22:23], s[18:19], -v[24:25]
	v_add_f64 v[26:27], v[132:133], -v[180:181]
	v_add_f64 v[188:189], v[188:189], v[194:195]
	v_add_f64 v[186:187], v[186:187], v[198:199]
	v_fma_f64 v[194:195], s[2:3], v[22:23], v[190:191]
	v_fma_f64 v[190:191], v[22:23], s[2:3], -v[190:191]
	v_fma_f64 v[198:199], s[18:19], v[22:23], v[24:25]
	v_add_f64 v[10:11], v[20:21], v[10:11]
	v_add_f64 v[20:21], v[134:135], v[182:183]
	;; [unrolled: 1-line block ×3, first 2 shown]
	v_mul_f64 v[132:133], v[26:27], s[24:25]
	v_add_f64 v[200:201], v[200:201], v[208:209]
	v_add_f64 v[24:25], v[134:135], -v[182:183]
	v_fma_f64 v[134:135], v[20:21], s[18:19], -v[132:133]
	v_add_f64 v[190:191], v[190:191], v[200:201]
	v_add_f64 v[200:201], v[134:135], v[32:33]
	v_mul_f64 v[32:33], v[24:25], s[24:25]
	v_fma_f64 v[134:135], s[18:19], v[22:23], v[32:33]
	v_fma_f64 v[32:33], v[22:23], s[18:19], -v[32:33]
	v_add_f64 v[202:203], v[202:203], v[210:211]
	v_add_f64 v[30:31], v[32:33], v[30:31]
	v_mul_f64 v[32:33], v[26:27], s[36:37]
	v_add_f64 v[204:205], v[204:205], v[212:213]
	v_add_f64 v[194:195], v[194:195], v[202:203]
	v_add_f64 v[202:203], v[134:135], v[36:37]
	v_fma_f64 v[36:37], v[20:21], s[16:17], -v[32:33]
	v_add_f64 v[192:193], v[192:193], v[204:205]
	v_fmac_f64_e32 v[132:133], s[18:19], v[20:21]
	v_add_f64 v[204:205], v[36:37], v[40:41]
	v_mul_f64 v[36:37], v[24:25], s[36:37]
	v_add_f64 v[206:207], v[206:207], v[214:215]
	v_add_f64 v[28:29], v[132:133], v[28:29]
	v_fma_f64 v[40:41], s[16:17], v[22:23], v[36:37]
	v_mul_f64 v[132:133], v[26:27], s[28:29]
	v_add_f64 v[198:199], v[198:199], v[206:207]
	v_add_f64 v[206:207], v[40:41], v[136:137]
	v_fmac_f64_e32 v[32:33], s[16:17], v[20:21]
	v_fma_f64 v[40:41], v[20:21], s[20:21], -v[132:133]
	v_fmac_f64_e32 v[132:133], s[20:21], v[20:21]
	v_add_f64 v[208:209], v[32:33], v[34:35]
	v_fma_f64 v[32:33], v[22:23], s[16:17], -v[36:37]
	v_mul_f64 v[36:37], v[26:27], s[26:27]
	v_add_f64 v[182:183], v[132:133], v[184:185]
	v_add_f64 v[184:185], v[124:125], v[128:129]
	v_add_f64 v[128:129], v[124:125], -v[128:129]
	v_add_f64 v[210:211], v[32:33], v[38:39]
	v_fma_f64 v[32:33], v[20:21], s[2:3], -v[36:37]
	v_add_f64 v[40:41], v[40:41], v[186:187]
	v_add_f64 v[186:187], v[126:127], v[130:131]
	v_mul_f64 v[124:125], v[128:129], s[24:25]
	v_add_f64 v[32:33], v[32:33], v[138:139]
	v_mul_f64 v[38:39], v[24:25], s[26:27]
	v_fmac_f64_e32 v[36:37], s[2:3], v[20:21]
	v_add_f64 v[130:131], v[126:127], -v[130:131]
	v_fma_f64 v[126:127], v[186:187], s[18:19], -v[124:125]
	v_fma_f64 v[34:35], s[2:3], v[22:23], v[38:39]
	v_add_f64 v[36:37], v[36:37], v[42:43]
	v_fma_f64 v[38:39], v[22:23], s[2:3], -v[38:39]
	v_add_f64 v[32:33], v[126:127], v[32:33]
	v_mul_f64 v[126:127], v[130:131], s[24:25]
	v_fmac_f64_e32 v[124:125], s[18:19], v[186:187]
	v_add_f64 v[38:39], v[38:39], v[140:141]
	v_add_f64 v[36:37], v[124:125], v[36:37]
	v_fma_f64 v[124:125], v[184:185], s[18:19], -v[126:127]
	v_mul_f64 v[134:135], v[24:25], s[28:29]
	v_add_f64 v[38:39], v[124:125], v[38:39]
	v_mul_f64 v[124:125], v[128:129], s[30:31]
	v_fma_f64 v[132:133], v[22:23], s[20:21], -v[134:135]
	v_mul_f64 v[26:27], v[26:27], s[30:31]
	v_fma_f64 v[138:139], s[18:19], v[184:185], v[126:127]
	v_fma_f64 v[126:127], v[186:187], s[14:15], -v[124:125]
	v_add_f64 v[34:35], v[34:35], v[188:189]
	v_fma_f64 v[42:43], s[20:21], v[22:23], v[134:135]
	v_add_f64 v[180:181], v[132:133], v[190:191]
	v_fma_f64 v[132:133], v[20:21], s[14:15], -v[26:27]
	v_mul_f64 v[24:25], v[24:25], s[30:31]
	v_add_f64 v[40:41], v[126:127], v[40:41]
	v_mul_f64 v[126:127], v[130:131], s[30:31]
	v_add_f64 v[42:43], v[42:43], v[194:195]
	v_add_f64 v[140:141], v[132:133], v[192:193]
	v_fma_f64 v[132:133], s[14:15], v[22:23], v[24:25]
	v_fmac_f64_e32 v[26:27], s[14:15], v[20:21]
	v_add_f64 v[34:35], v[138:139], v[34:35]
	v_fma_f64 v[138:139], s[14:15], v[184:185], v[126:127]
	v_add_f64 v[136:137], v[132:133], v[198:199]
	v_add_f64 v[132:133], v[26:27], v[8:9]
	v_fma_f64 v[8:9], v[22:23], s[14:15], -v[24:25]
	v_add_f64 v[42:43], v[138:139], v[42:43]
	v_mul_f64 v[138:139], v[128:129], s[22:23]
	v_add_f64 v[134:135], v[8:9], v[10:11]
	v_mul_f64 v[8:9], v[128:129], s[28:29]
	v_mul_f64 v[24:25], v[128:129], s[34:35]
	v_fma_f64 v[128:129], v[186:187], s[16:17], -v[138:139]
	v_fma_f64 v[10:11], v[186:187], s[20:21], -v[8:9]
	v_fmac_f64_e32 v[8:9], s[20:21], v[186:187]
	v_fma_f64 v[26:27], v[186:187], s[2:3], -v[24:25]
	v_add_f64 v[128:129], v[128:129], v[140:141]
	v_mul_f64 v[140:141], v[130:131], s[22:23]
	v_add_f64 v[20:21], v[10:11], v[200:201]
	v_mul_f64 v[10:11], v[130:131], s[28:29]
	v_add_f64 v[8:9], v[8:9], v[28:29]
	v_add_f64 v[28:29], v[26:27], v[204:205]
	v_mul_f64 v[26:27], v[130:131], s[34:35]
	v_fma_f64 v[130:131], s[16:17], v[184:185], v[140:141]
	v_add_f64 v[130:131], v[130:131], v[136:137]
	v_fma_f64 v[136:137], v[184:185], s[16:17], -v[140:141]
	v_fmac_f64_e32 v[124:125], s[14:15], v[186:187]
	v_add_f64 v[134:135], v[136:137], v[134:135]
	v_add_f64 v[136:137], v[144:145], -v[176:177]
	v_fmac_f64_e32 v[24:25], s[2:3], v[186:187]
	v_add_f64 v[124:125], v[124:125], v[182:183]
	v_fmac_f64_e32 v[138:139], s[16:17], v[186:187]
	v_add_f64 v[186:187], v[142:143], v[174:175]
	v_mul_f64 v[182:183], v[136:137], s[26:27]
	v_fma_f64 v[22:23], s[20:21], v[184:185], v[10:11]
	v_fma_f64 v[10:11], v[184:185], s[20:21], -v[10:11]
	v_add_f64 v[132:133], v[138:139], v[132:133]
	v_add_f64 v[138:139], v[142:143], -v[174:175]
	v_fma_f64 v[188:189], v[186:187], s[2:3], -v[182:183]
	v_add_f64 v[10:11], v[10:11], v[30:31]
	v_fma_f64 v[30:31], s[2:3], v[184:185], v[26:27]
	v_fma_f64 v[26:27], v[184:185], s[2:3], -v[26:27]
	v_fma_f64 v[126:127], v[184:185], s[14:15], -v[126:127]
	v_add_f64 v[184:185], v[144:145], v[176:177]
	v_add_f64 v[198:199], v[2:3], v[188:189]
	v_mul_f64 v[188:189], v[138:139], s[38:39]
	v_fma_f64 v[190:191], v[184:185], s[14:15], -v[188:189]
	v_add_f64 v[200:201], v[0:1], v[190:191]
	v_mul_f64 v[190:191], v[136:137], s[38:39]
	v_fmac_f64_e32 v[188:189], s[14:15], v[184:185]
	v_add_f64 v[204:205], v[0:1], v[188:189]
	v_fma_f64 v[188:189], v[186:187], s[14:15], -v[190:191]
	v_add_f64 v[30:31], v[30:31], v[206:207]
	v_add_f64 v[206:207], v[2:3], v[188:189]
	v_mul_f64 v[188:189], v[138:139], s[22:23]
	v_fma_f64 v[192:193], s[14:15], v[186:187], v[190:191]
	v_fma_f64 v[190:191], v[184:185], s[16:17], -v[188:189]
	v_add_f64 v[24:25], v[24:25], v[208:209]
	v_add_f64 v[208:209], v[0:1], v[190:191]
	v_mul_f64 v[190:191], v[136:137], s[22:23]
	v_fmac_f64_e32 v[188:189], s[16:17], v[184:185]
	v_add_f64 v[212:213], v[0:1], v[188:189]
	v_fma_f64 v[188:189], v[186:187], s[16:17], -v[190:191]
	v_add_f64 v[214:215], v[2:3], v[188:189]
	v_mul_f64 v[188:189], v[138:139], s[24:25]
	v_add_f64 v[22:23], v[22:23], v[202:203]
	v_add_f64 v[202:203], v[2:3], v[192:193]
	v_fma_f64 v[192:193], s[16:17], v[186:187], v[190:191]
	v_fma_f64 v[190:191], v[184:185], s[18:19], -v[188:189]
	v_add_f64 v[216:217], v[0:1], v[190:191]
	v_mul_f64 v[190:191], v[136:137], s[24:25]
	v_fmac_f64_e32 v[188:189], s[18:19], v[184:185]
	v_add_f64 v[126:127], v[126:127], v[180:181]
	v_mul_f64 v[180:181], v[138:139], s[26:27]
	v_add_f64 v[220:221], v[0:1], v[188:189]
	v_fma_f64 v[188:189], v[186:187], s[18:19], -v[190:191]
	v_mul_f64 v[138:139], v[138:139], s[28:29]
	v_add_f64 v[222:223], v[2:3], v[188:189]
	v_fma_f64 v[188:189], v[184:185], s[20:21], -v[138:139]
	v_mul_f64 v[136:137], v[136:137], s[28:29]
	v_add_f64 v[26:27], v[26:27], v[210:211]
	v_add_f64 v[210:211], v[2:3], v[192:193]
	v_fma_f64 v[192:193], s[18:19], v[186:187], v[190:191]
	v_add_f64 v[224:225], v[0:1], v[188:189]
	v_fma_f64 v[188:189], s[20:21], v[186:187], v[136:137]
	v_add_f64 v[230:231], v[146:147], -v[172:173]
	v_fma_f64 v[140:141], s[2:3], v[184:185], v[180:181]
	v_add_f64 v[218:219], v[2:3], v[192:193]
	v_add_f64 v[226:227], v[2:3], v[188:189]
	;; [unrolled: 1-line block ×3, first 2 shown]
	v_add_f64 v[228:229], v[152:153], -v[170:171]
	v_mul_f64 v[188:189], v[230:231], s[38:39]
	v_add_f64 v[140:141], v[0:1], v[140:141]
	v_add_f64 v[194:195], v[146:147], v[172:173]
	v_mul_f64 v[190:191], v[228:229], s[38:39]
	v_fma_f64 v[232:233], s[14:15], v[192:193], v[188:189]
	v_add_f64 v[140:141], v[232:233], v[140:141]
	v_fma_f64 v[232:233], v[194:195], s[14:15], -v[190:191]
	v_add_f64 v[232:233], v[232:233], v[198:199]
	v_mul_f64 v[198:199], v[230:231], s[24:25]
	v_fma_f64 v[234:235], v[192:193], s[18:19], -v[198:199]
	v_add_f64 v[234:235], v[234:235], v[200:201]
	v_mul_f64 v[200:201], v[228:229], s[24:25]
	v_fmac_f64_e32 v[198:199], s[18:19], v[192:193]
	v_add_f64 v[204:205], v[198:199], v[204:205]
	v_fma_f64 v[198:199], v[194:195], s[18:19], -v[200:201]
	v_add_f64 v[206:207], v[198:199], v[206:207]
	v_mul_f64 v[198:199], v[230:231], s[40:41]
	v_fma_f64 v[236:237], s[18:19], v[194:195], v[200:201]
	v_fma_f64 v[200:201], v[192:193], s[20:21], -v[198:199]
	v_add_f64 v[208:209], v[200:201], v[208:209]
	v_mul_f64 v[200:201], v[228:229], s[40:41]
	v_fmac_f64_e32 v[198:199], s[20:21], v[192:193]
	v_add_f64 v[212:213], v[198:199], v[212:213]
	v_fma_f64 v[198:199], v[194:195], s[20:21], -v[200:201]
	v_add_f64 v[214:215], v[198:199], v[214:215]
	v_mul_f64 v[198:199], v[230:231], s[36:37]
	v_add_f64 v[236:237], v[236:237], v[202:203]
	v_fma_f64 v[202:203], s[20:21], v[194:195], v[200:201]
	v_fma_f64 v[200:201], v[192:193], s[16:17], -v[198:199]
	v_add_f64 v[216:217], v[200:201], v[216:217]
	v_mul_f64 v[200:201], v[228:229], s[36:37]
	v_fmac_f64_e32 v[198:199], s[16:17], v[192:193]
	v_add_f64 v[220:221], v[198:199], v[220:221]
	v_fma_f64 v[198:199], v[194:195], s[16:17], -v[200:201]
	v_add_f64 v[222:223], v[198:199], v[222:223]
	v_mul_f64 v[198:199], v[230:231], s[34:35]
	v_fmac_f64_e32 v[138:139], s[20:21], v[184:185]
	v_add_f64 v[210:211], v[202:203], v[210:211]
	v_fma_f64 v[202:203], s[16:17], v[194:195], v[200:201]
	v_fma_f64 v[200:201], v[192:193], s[2:3], -v[198:199]
	v_add_f64 v[138:139], v[0:1], v[138:139]
	v_fma_f64 v[136:137], v[186:187], s[20:21], -v[136:137]
	v_add_f64 v[224:225], v[200:201], v[224:225]
	v_mul_f64 v[200:201], v[228:229], s[34:35]
	v_fmac_f64_e32 v[198:199], s[2:3], v[192:193]
	v_add_f64 v[136:137], v[2:3], v[136:137]
	v_add_f64 v[228:229], v[198:199], v[138:139]
	v_fma_f64 v[138:139], v[194:195], s[2:3], -v[200:201]
	v_add_f64 v[238:239], v[148:149], -v[166:167]
	v_add_f64 v[218:219], v[202:203], v[218:219]
	v_fma_f64 v[202:203], s[2:3], v[194:195], v[200:201]
	v_add_f64 v[136:137], v[138:139], v[136:137]
	v_add_f64 v[198:199], v[154:155], v[168:169]
	v_add_f64 v[230:231], v[154:155], -v[168:169]
	v_mul_f64 v[138:139], v[238:239], s[22:23]
	v_add_f64 v[226:227], v[202:203], v[226:227]
	v_add_f64 v[200:201], v[148:149], v[166:167]
	v_mul_f64 v[202:203], v[230:231], s[22:23]
	v_fma_f64 v[240:241], s[16:17], v[198:199], v[138:139]
	v_add_f64 v[240:241], v[240:241], v[140:141]
	v_fma_f64 v[140:141], v[200:201], s[16:17], -v[202:203]
	v_add_f64 v[232:233], v[140:141], v[232:233]
	v_mul_f64 v[140:141], v[238:239], s[40:41]
	v_fma_f64 v[242:243], v[198:199], s[20:21], -v[140:141]
	v_add_f64 v[234:235], v[242:243], v[234:235]
	v_mul_f64 v[242:243], v[230:231], s[40:41]
	v_fma_f64 v[244:245], s[20:21], v[200:201], v[242:243]
	v_fmac_f64_e32 v[140:141], s[20:21], v[198:199]
	v_add_f64 v[236:237], v[244:245], v[236:237]
	v_add_f64 v[244:245], v[140:141], v[204:205]
	v_fma_f64 v[140:141], v[200:201], s[20:21], -v[242:243]
	v_add_f64 v[242:243], v[140:141], v[206:207]
	v_mul_f64 v[140:141], v[238:239], s[30:31]
	v_fma_f64 v[204:205], v[198:199], s[14:15], -v[140:141]
	v_add_f64 v[208:209], v[204:205], v[208:209]
	v_mul_f64 v[204:205], v[230:231], s[30:31]
	v_fmac_f64_e32 v[140:141], s[14:15], v[198:199]
	v_add_f64 v[212:213], v[140:141], v[212:213]
	v_fma_f64 v[140:141], v[200:201], s[14:15], -v[204:205]
	v_add_f64 v[214:215], v[140:141], v[214:215]
	v_mul_f64 v[140:141], v[238:239], s[26:27]
	v_fma_f64 v[206:207], s[14:15], v[200:201], v[204:205]
	v_fma_f64 v[204:205], v[198:199], s[2:3], -v[140:141]
	v_add_f64 v[216:217], v[204:205], v[216:217]
	v_mul_f64 v[204:205], v[230:231], s[26:27]
	v_fmac_f64_e32 v[140:141], s[2:3], v[198:199]
	v_add_f64 v[220:221], v[140:141], v[220:221]
	v_fma_f64 v[140:141], v[200:201], s[2:3], -v[204:205]
	v_add_f64 v[222:223], v[140:141], v[222:223]
	v_mul_f64 v[140:141], v[238:239], s[24:25]
	v_add_f64 v[210:211], v[206:207], v[210:211]
	v_fma_f64 v[206:207], s[2:3], v[200:201], v[204:205]
	v_fma_f64 v[204:205], v[198:199], s[18:19], -v[140:141]
	v_add_f64 v[246:247], v[204:205], v[224:225]
	v_mul_f64 v[204:205], v[230:231], s[24:25]
	v_fmac_f64_e32 v[140:141], s[18:19], v[198:199]
	v_add_f64 v[250:251], v[140:141], v[228:229]
	v_fma_f64 v[140:141], v[200:201], s[18:19], -v[204:205]
	v_add_f64 v[144:145], v[150:151], -v[164:165]
	v_add_f64 v[218:219], v[206:207], v[218:219]
	v_fma_f64 v[206:207], s[18:19], v[200:201], v[204:205]
	v_add_f64 v[252:253], v[140:141], v[136:137]
	v_add_f64 v[140:141], v[156:157], v[160:161]
	v_mul_f64 v[136:137], v[144:145], s[24:25]
	v_add_f64 v[248:249], v[206:207], v[226:227]
	v_add_f64 v[204:205], v[150:151], v[164:165]
	v_mul_f64 v[206:207], v[254:255], s[24:25]
	v_fma_f64 v[224:225], s[18:19], v[140:141], v[136:137]
	v_add_f64 v[152:153], v[224:225], v[240:241]
	v_fma_f64 v[224:225], v[204:205], s[18:19], -v[206:207]
	v_add_f64 v[154:155], v[224:225], v[232:233]
	v_mul_f64 v[224:225], v[144:145], s[36:37]
	v_fma_f64 v[226:227], v[140:141], s[16:17], -v[224:225]
	v_add_f64 v[156:157], v[226:227], v[234:235]
	v_mul_f64 v[226:227], v[254:255], s[36:37]
	v_fmac_f64_e32 v[224:225], s[16:17], v[140:141]
	v_add_f64 v[244:245], v[224:225], v[244:245]
	v_fma_f64 v[224:225], v[204:205], s[16:17], -v[226:227]
	v_add_f64 v[168:169], v[224:225], v[242:243]
	v_mul_f64 v[224:225], v[144:145], s[26:27]
	v_fma_f64 v[228:229], s[16:17], v[204:205], v[226:227]
	v_fma_f64 v[226:227], v[140:141], s[2:3], -v[224:225]
	v_add_f64 v[240:241], v[226:227], v[208:209]
	v_mul_f64 v[208:209], v[254:255], s[26:27]
	v_fma_f64 v[226:227], s[2:3], v[204:205], v[208:209]
	v_fma_f64 v[208:209], v[204:205], s[2:3], -v[208:209]
	v_add_f64 v[238:239], v[208:209], v[214:215]
	v_mul_f64 v[208:209], v[144:145], s[28:29]
	v_add_f64 v[242:243], v[226:227], v[210:211]
	v_fma_f64 v[210:211], v[140:141], s[20:21], -v[208:209]
	v_add_f64 v[160:161], v[228:229], v[236:237]
	v_fmac_f64_e32 v[224:225], s[2:3], v[140:141]
	v_add_f64 v[228:229], v[210:211], v[216:217]
	v_mul_f64 v[210:211], v[254:255], s[28:29]
	v_fmac_f64_e32 v[208:209], s[20:21], v[140:141]
	v_add_f64 v[236:237], v[224:225], v[212:213]
	v_add_f64 v[224:225], v[208:209], v[220:221]
	v_fma_f64 v[208:209], v[204:205], s[20:21], -v[210:211]
	v_mul_f64 v[144:145], v[144:145], s[30:31]
	v_add_f64 v[226:227], v[208:209], v[222:223]
	v_fma_f64 v[208:209], v[140:141], s[14:15], -v[144:145]
	v_add_f64 v[220:221], v[208:209], v[246:247]
	v_mul_f64 v[208:209], v[254:255], s[30:31]
	v_fmac_f64_e32 v[144:145], s[14:15], v[140:141]
	v_fma_f64 v[212:213], s[20:21], v[204:205], v[210:211]
	v_add_f64 v[216:217], v[144:145], v[250:251]
	v_fma_f64 v[144:145], v[204:205], s[14:15], -v[208:209]
	v_add_f64 v[230:231], v[212:213], v[218:219]
	v_accvgpr_read_b32 v251, a57
	v_add_f64 v[218:219], v[144:145], v[252:253]
	v_accvgpr_read_b32 v253, a55
	v_fma_f64 v[210:211], s[14:15], v[204:205], v[208:209]
	v_accvgpr_read_b32 v250, a56
	v_accvgpr_read_b32 v252, a54
	v_add_f64 v[234:235], v[158:159], -v[162:163]
	v_add_f64 v[222:223], v[210:211], v[248:249]
	v_add_f64 v[210:211], v[250:251], v[252:253]
	v_add_f64 v[232:233], v[250:251], -v[252:253]
	v_mul_f64 v[208:209], v[234:235], s[28:29]
	v_add_f64 v[212:213], v[158:159], v[162:163]
	v_mul_f64 v[214:215], v[232:233], s[28:29]
	v_fma_f64 v[144:145], s[20:21], v[210:211], v[208:209]
	v_add_f64 v[152:153], v[144:145], v[152:153]
	v_fma_f64 v[144:145], v[212:213], s[20:21], -v[214:215]
	v_add_f64 v[154:155], v[144:145], v[154:155]
	v_accvgpr_write_b32 a58, v152
	v_mul_f64 v[144:145], v[234:235], s[34:35]
	v_accvgpr_write_b32 a59, v153
	v_accvgpr_write_b32 a60, v154
	;; [unrolled: 1-line block ×3, first 2 shown]
	v_fma_f64 v[152:153], v[210:211], s[2:3], -v[144:145]
	v_add_f64 v[246:247], v[152:153], v[156:157]
	v_mul_f64 v[152:153], v[232:233], s[34:35]
	v_fma_f64 v[154:155], s[2:3], v[212:213], v[152:153]
	v_fmac_f64_e32 v[144:145], s[2:3], v[210:211]
	v_add_f64 v[248:249], v[154:155], v[160:161]
	v_add_f64 v[154:155], v[144:145], v[244:245]
	v_fma_f64 v[144:145], v[212:213], s[2:3], -v[152:153]
	v_add_f64 v[156:157], v[144:145], v[168:169]
	v_mul_f64 v[144:145], v[234:235], s[24:25]
	v_fma_f64 v[152:153], v[210:211], s[18:19], -v[144:145]
	v_accvgpr_write_b32 a62, v154
	v_add_f64 v[240:241], v[152:153], v[240:241]
	v_mul_f64 v[152:153], v[232:233], s[24:25]
	v_accvgpr_write_b32 a63, v155
	v_accvgpr_write_b32 a64, v156
	v_accvgpr_write_b32 a65, v157
	v_fma_f64 v[154:155], s[18:19], v[212:213], v[152:153]
	v_fmac_f64_e32 v[144:145], s[18:19], v[210:211]
	v_add_f64 v[242:243], v[154:155], v[242:243]
	v_add_f64 v[154:155], v[144:145], v[236:237]
	v_fma_f64 v[144:145], v[212:213], s[18:19], -v[152:153]
	v_add_f64 v[156:157], v[144:145], v[238:239]
	v_mul_f64 v[144:145], v[234:235], s[30:31]
	v_fma_f64 v[152:153], v[210:211], s[14:15], -v[144:145]
	v_accvgpr_write_b32 a74, v154
	v_add_f64 v[228:229], v[152:153], v[228:229]
	v_mul_f64 v[152:153], v[232:233], s[30:31]
	v_accvgpr_write_b32 a75, v155
	v_accvgpr_write_b32 a76, v156
	v_accvgpr_write_b32 a77, v157
	;; [unrolled: 14-line block ×3, first 2 shown]
	v_fma_f64 v[154:155], s[16:17], v[212:213], v[152:153]
	v_fmac_f64_e32 v[144:145], s[16:17], v[210:211]
	v_add_f64 v[222:223], v[154:155], v[222:223]
	v_add_f64 v[154:155], v[144:145], v[216:217]
	v_fma_f64 v[144:145], v[212:213], s[16:17], -v[152:153]
	v_add_f64 v[156:157], v[144:145], v[218:219]
	v_accvgpr_read_b32 v144, a1
	v_mul_u32_u24_e32 v144, 0x4d, v144
	v_add_lshl_u32 v197, v144, v197, 4
	ds_write_b128 v197, v[4:7]
	ds_write_b128 v197, v[48:51] offset:112
	ds_write_b128 v197, v[56:59] offset:224
	;; [unrolled: 1-line block ×10, first 2 shown]
	v_accvgpr_read_b32 v4, a2
	v_mul_u32_u24_e32 v4, 0x4d, v4
	v_accvgpr_read_b32 v5, a3
	v_add_lshl_u32 v216, v4, v5, 4
	v_accvgpr_read_b32 v4, a45
	v_accvgpr_write_b32 a54, v246
	v_accvgpr_write_b32 a66, v240
	;; [unrolled: 1-line block ×5, first 2 shown]
	v_mul_u32_u24_e32 v4, 0x4d, v4
	v_accvgpr_write_b32 a55, v247
	v_accvgpr_write_b32 a56, v248
	;; [unrolled: 1-line block ×15, first 2 shown]
	v_add_lshl_u32 v217, v4, v179, 4
	ds_write_b128 v216, v[84:87]
	ds_write_b128 v216, v[88:91] offset:112
	ds_write_b128 v216, v[96:99] offset:224
	;; [unrolled: 1-line block ×10, first 2 shown]
	ds_write_b128 v217, v[120:123]
	ds_write_b128 v217, v[20:23] offset:112
	ds_write_b128 v217, v[28:31] offset:224
	;; [unrolled: 1-line block ×10, first 2 shown]
	s_and_saveexec_b64 s[22:23], s[0:1]
	s_cbranch_execz .LBB0_5
; %bb.4:
	v_mul_f64 v[4:5], v[184:185], s[2:3]
	v_mul_f64 v[8:9], v[192:193], s[14:15]
	v_add_f64 v[4:5], v[4:5], -v[180:181]
	v_add_f64 v[8:9], v[8:9], -v[188:189]
	v_add_f64 v[4:5], v[0:1], v[4:5]
	v_add_f64 v[4:5], v[8:9], v[4:5]
	v_accvgpr_read_b32 v8, a78
	v_accvgpr_read_b32 v9, a79
	v_add_f64 v[0:1], v[0:1], v[8:9]
	v_accvgpr_read_b32 v8, a80
	v_accvgpr_read_b32 v9, a81
	;; [unrolled: 3-line block ×4, first 2 shown]
	v_add_f64 v[0:1], v[0:1], v[8:9]
	v_add_f64 v[0:1], v[0:1], v[250:251]
	v_accvgpr_read_b32 v8, a86
	v_add_f64 v[0:1], v[0:1], v[252:253]
	v_accvgpr_read_b32 v9, a87
	;; [unrolled: 2-line block ×3, first 2 shown]
	v_accvgpr_read_b32 v9, a89
	v_add_f64 v[0:1], v[0:1], v[8:9]
	v_accvgpr_read_b32 v8, a90
	v_accvgpr_read_b32 v9, a91
	v_add_f64 v[0:1], v[0:1], v[8:9]
	v_accvgpr_read_b32 v8, a92
	v_accvgpr_read_b32 v9, a93
	v_add_f64 v[0:1], v[0:1], v[8:9]
	buffer_load_dword v8, off, s[44:47], 0 offset:96 ; 4-byte Folded Reload
	buffer_load_dword v9, off, s[44:47], 0 offset:212 ; 4-byte Folded Reload
	v_mul_f64 v[6:7], v[186:187], s[2:3]
	v_add_f64 v[6:7], v[182:183], v[6:7]
	v_add_f64 v[6:7], v[2:3], v[6:7]
	v_add_f64 v[2:3], v[2:3], v[142:143]
	v_add_f64 v[2:3], v[2:3], v[146:147]
	v_add_f64 v[2:3], v[2:3], v[148:149]
	v_add_f64 v[2:3], v[2:3], v[150:151]
	v_add_f64 v[2:3], v[2:3], v[158:159]
	v_mul_f64 v[10:11], v[194:195], s[14:15]
	v_add_f64 v[2:3], v[2:3], v[162:163]
	v_mul_f64 v[12:13], v[198:199], s[16:17]
	v_mul_f64 v[14:15], v[200:201], s[16:17]
	v_add_f64 v[10:11], v[190:191], v[10:11]
	v_add_f64 v[2:3], v[2:3], v[164:165]
	v_mul_f64 v[16:17], v[140:141], s[18:19]
	v_mul_f64 v[18:19], v[204:205], s[18:19]
	v_add_f64 v[14:15], v[202:203], v[14:15]
	v_add_f64 v[6:7], v[10:11], v[6:7]
	v_add_f64 v[12:13], v[12:13], -v[138:139]
	v_add_f64 v[2:3], v[2:3], v[166:167]
	v_mul_f64 v[20:21], v[210:211], s[20:21]
	v_mul_f64 v[22:23], v[212:213], s[20:21]
	v_add_f64 v[18:19], v[206:207], v[18:19]
	v_add_f64 v[6:7], v[14:15], v[6:7]
	v_add_f64 v[14:15], v[16:17], -v[136:137]
	v_add_f64 v[4:5], v[12:13], v[4:5]
	v_add_f64 v[2:3], v[2:3], v[172:173]
	;; [unrolled: 1-line block ×4, first 2 shown]
	v_add_f64 v[10:11], v[20:21], -v[208:209]
	v_add_f64 v[4:5], v[14:15], v[4:5]
	v_add_f64 v[2:3], v[2:3], v[174:175]
	;; [unrolled: 1-line block ×4, first 2 shown]
	s_waitcnt vmcnt(1)
	v_mul_u32_u24_e32 v8, 0x4d, v8
	s_waitcnt vmcnt(0)
	v_add_lshl_u32 v8, v8, v9, 4
	ds_write_b128 v8, v[0:3]
	ds_write_b128 v8, v[4:7] offset:112
	ds_write_b128 v8, a[54:57] offset:224
	;; [unrolled: 1-line block ×10, first 2 shown]
.LBB0_5:
	s_or_b64 exec, exec, s[22:23]
	v_accvgpr_read_b32 v174, a44
	v_lshlrev_b32_e32 v154, 6, v174
	s_waitcnt lgkmcnt(0)
	; wave barrier
	s_waitcnt lgkmcnt(0)
	global_load_dwordx4 v[124:127], v154, s[10:11] offset:1120
	global_load_dwordx4 v[120:123], v154, s[10:11] offset:1136
	global_load_dwordx4 v[112:115], v154, s[10:11] offset:1152
	ds_read_b128 v[100:103], v196 offset:6160
	ds_read_b128 v[96:99], v196 offset:12320
	;; [unrolled: 1-line block ×11, first 2 shown]
	global_load_dwordx4 v[116:119], v154, s[10:11] offset:1168
	v_add_co_u32_e32 v161, vcc, 0x113, v174
	s_movk_i32 s2, 0xffea
	v_cmp_gt_u16_e32 vcc, 22, v174
	v_add_co_u32_e64 v0, s[2:3], s2, v174
	v_accvgpr_read_b32 v176, a184
	v_addc_co_u32_e64 v1, s[2:3], 0, -1, s[2:3]
	v_cndmask_b32_e32 v104, v0, v176, vcc
	v_accvgpr_read_b32 v0, a0
	v_cndmask_b32_e32 v105, v1, v0, vcc
	v_lshlrev_b64 v[0:1], 6, v[104:105]
	v_mov_b32_e32 v160, s11
	v_add_co_u32_e32 v106, vcc, s10, v0
	v_addc_co_u32_e32 v107, vcc, v160, v1, vcc
	s_movk_i32 s2, 0xd5
	v_accvgpr_read_b32 v194, a102
	ds_read_b128 v[12:15], v196 offset:26400
	ds_read_b128 v[8:11], v196 offset:8800
	global_load_dwordx4 v[146:149], v[106:107], off offset:1120
	v_mul_lo_u16_sdwa v108, v194, s2 dst_sel:DWORD dst_unused:UNUSED_PAD src0_sel:BYTE_0 src1_sel:DWORD
	v_mul_lo_u16_sdwa v109, v178, s2 dst_sel:DWORD dst_unused:UNUSED_PAD src0_sel:BYTE_0 src1_sel:DWORD
	v_lshrrev_b16_e32 v156, 14, v108
	ds_read_b128 v[88:91], v196 offset:14960
	ds_read_b128 v[84:87], v196 offset:21120
	;; [unrolled: 1-line block ×13, first 2 shown]
	global_load_dwordx4 v[182:185], v[106:107], off offset:1136
	global_load_dwordx4 v[150:153], v[106:107], off offset:1152
	v_lshrrev_b16_e32 v108, 14, v109
	v_mul_lo_u16_e32 v109, 0x4d, v156
	global_load_dwordx4 v[170:173], v[106:107], off offset:1168
	v_sub_u16_e32 v106, v194, v109
	v_and_b32_e32 v157, 0xff, v106
	v_lshlrev_b32_e32 v106, 6, v157
	s_movk_i32 s2, 0x1a99
	v_accvgpr_read_b32 v180, a226
	global_load_dwordx4 v[166:169], v106, s[10:11] offset:1120
	v_mul_lo_u16_e32 v108, 0x4d, v108
	v_mov_b32_e32 v105, 6
	v_sub_u16_e32 v155, v178, v108
	global_load_dwordx4 v[186:189], v106, s[10:11] offset:1168
	global_load_dwordx4 v[202:205], v106, s[10:11] offset:1136
	;; [unrolled: 1-line block ×3, first 2 shown]
	s_movk_i32 s14, 0x14a
	v_lshlrev_b32_sdwa v105, v105, v155 dst_sel:DWORD dst_unused:UNUSED_PAD src0_sel:DWORD src1_sel:BYTE_0
	v_add_co_u32_e32 v162, vcc, s14, v174
	s_mov_b32 s14, 0x134454ff
	s_mov_b32 s15, 0x3fee6f0e
	;; [unrolled: 1-line block ×10, first 2 shown]
	s_movk_i32 s24, 0x1000
	s_mov_b32 s25, 0xbfe77f67
	s_mov_b32 s27, 0x3fd5d0dc
	s_waitcnt vmcnt(11) lgkmcnt(14)
	v_mul_f64 v[106:107], v[102:103], v[126:127]
	s_waitcnt vmcnt(10)
	v_mul_f64 v[108:109], v[98:99], v[122:123]
	s_waitcnt vmcnt(9)
	v_mul_f64 v[110:111], v[94:95], v[114:115]
	v_fma_f64 v[136:137], v[92:93], v[112:113], -v[110:111]
	v_mul_f64 v[138:139], v[92:93], v[114:115]
	v_mul_u32_u24_sdwa v92, v180, s2 dst_sel:DWORD dst_unused:UNUSED_PAD src0_sel:WORD_0 src1_sel:DWORD
	v_fmac_f64_e32 v[138:139], v[94:95], v[112:113]
	v_lshrrev_b32_e32 v158, 19, v92
	s_waitcnt vmcnt(8)
	v_mul_f64 v[94:95], v[46:47], v[118:119]
	v_mul_lo_u16_e32 v92, 0x4d, v158
	v_fma_f64 v[144:145], v[44:45], v[116:117], -v[94:95]
	v_mul_f64 v[142:143], v[44:45], v[118:119]
	v_mul_u32_u24_sdwa v44, v161, s2 dst_sel:DWORD dst_unused:UNUSED_PAD src0_sel:WORD_0 src1_sel:DWORD
	v_sub_u16_e32 v159, v180, v92
	v_lshrrev_b32_e32 v163, 19, v44
	v_fma_f64 v[132:133], v[100:101], v[124:125], -v[106:107]
	v_fma_f64 v[134:135], v[96:97], v[120:121], -v[108:109]
	global_load_dwordx4 v[106:109], v105, s[10:11] offset:1120
	v_lshlrev_b16_e32 v92, 6, v159
	v_mul_lo_u16_e32 v44, 0x4d, v163
	v_accvgpr_write_b32 a78, v112
	v_add_co_u32_e32 v92, vcc, s10, v92
	v_sub_u16_e32 v164, v161, v44
	v_accvgpr_write_b32 a79, v113
	v_accvgpr_write_b32 a80, v114
	;; [unrolled: 1-line block ×3, first 2 shown]
	global_load_dwordx4 v[190:193], v105, s[10:11] offset:1168
	global_load_dwordx4 v[206:209], v105, s[10:11] offset:1136
	;; [unrolled: 1-line block ×3, first 2 shown]
	v_addc_co_u32_e32 v93, vcc, 0, v160, vcc
	v_lshlrev_b16_e32 v44, 6, v164
	v_add_co_u32_e32 v44, vcc, s10, v44
	global_load_dwordx4 v[222:225], v[92:93], off offset:1120
	v_addc_co_u32_e32 v45, vcc, 0, v160, vcc
	v_mul_f64 v[130:131], v[96:97], v[122:123]
	global_load_dwordx4 v[218:221], v[92:93], off offset:1136
	global_load_dwordx4 v[94:97], v[92:93], off offset:1168
	;; [unrolled: 1-line block ×7, first 2 shown]
	v_mul_u32_u24_sdwa v44, v162, s2 dst_sel:DWORD dst_unused:UNUSED_PAD src0_sel:WORD_0 src1_sel:DWORD
	v_lshrrev_b32_e32 v44, 19, v44
	v_mul_lo_u16_e32 v44, 0x4d, v44
	v_sub_u16_e32 v165, v162, v44
	v_lshlrev_b16_e32 v44, 6, v165
	v_mul_f64 v[128:129], v[100:101], v[126:127]
	v_add_co_u32_e32 v100, vcc, s10, v44
	v_addc_co_u32_e32 v101, vcc, 0, v160, vcc
	global_load_dwordx4 v[246:249], v[100:101], off offset:1120
	global_load_dwordx4 v[242:245], v[100:101], off offset:1136
	v_fmac_f64_e32 v[142:143], v[46:47], v[116:117]
	s_waitcnt vmcnt(21)
	v_mul_f64 v[46:47], v[42:43], v[148:149]
	v_fma_f64 v[140:141], v[40:41], v[146:147], -v[46:47]
	v_mul_f64 v[40:41], v[40:41], v[148:149]
	v_accvgpr_write_b32 a102, v146
	v_fmac_f64_e32 v[40:41], v[42:43], v[146:147]
	s_waitcnt vmcnt(20)
	v_mul_f64 v[42:43], v[38:39], v[184:185]
	v_accvgpr_write_b32 a103, v147
	v_accvgpr_write_b32 a104, v148
	;; [unrolled: 1-line block ×3, first 2 shown]
	v_fma_f64 v[146:147], v[36:37], v[182:183], -v[42:43]
	v_mul_f64 v[42:43], v[36:37], v[184:185]
	s_waitcnt vmcnt(19)
	v_mul_f64 v[36:37], v[34:35], v[152:153]
	v_fma_f64 v[148:149], v[32:33], v[150:151], -v[36:37]
	v_mul_f64 v[32:33], v[32:33], v[152:153]
	v_accvgpr_write_b32 a118, v150
	v_fmac_f64_e32 v[32:33], v[34:35], v[150:151]
	s_waitcnt vmcnt(18)
	v_mul_f64 v[34:35], v[30:31], v[172:173]
	v_accvgpr_write_b32 a86, v120
	v_accvgpr_write_b32 a119, v151
	;; [unrolled: 1-line block ×4, first 2 shown]
	v_fma_f64 v[152:153], v[28:29], v[170:171], -v[34:35]
	v_mul_f64 v[150:151], v[28:29], v[172:173]
	s_waitcnt vmcnt(17)
	v_mul_f64 v[28:29], v[26:27], v[168:169]
	v_accvgpr_write_b32 a87, v121
	v_accvgpr_write_b32 a88, v122
	;; [unrolled: 1-line block ×3, first 2 shown]
	v_fmac_f64_e32 v[130:131], v[98:99], v[120:121]
	v_fma_f64 v[120:121], v[24:25], v[166:167], -v[28:29]
	v_mul_f64 v[34:35], v[24:25], v[168:169]
	s_waitcnt vmcnt(15)
	v_mul_f64 v[24:25], v[22:23], v[204:205]
	v_accvgpr_write_b32 a90, v124
	v_fma_f64 v[122:123], v[20:21], v[202:203], -v[24:25]
	v_mul_f64 v[36:37], v[20:21], v[204:205]
	s_waitcnt vmcnt(14)
	v_mul_f64 v[20:21], v[18:19], v[200:201]
	v_accvgpr_write_b32 a91, v125
	v_accvgpr_write_b32 a92, v126
	;; [unrolled: 1-line block ×3, first 2 shown]
	v_fmac_f64_e32 v[128:129], v[102:103], v[124:125]
	v_fmac_f64_e32 v[42:43], v[38:39], v[182:183]
	v_fma_f64 v[124:125], v[16:17], v[198:199], -v[20:21]
	v_mul_f64 v[38:39], v[16:17], v[200:201]
	v_mul_f64 v[16:17], v[14:15], v[188:189]
	v_fma_f64 v[126:127], v[12:13], v[186:187], -v[16:17]
	v_mul_f64 v[44:45], v[12:13], v[188:189]
	s_waitcnt vmcnt(13) lgkmcnt(13)
	v_mul_f64 v[12:13], v[10:11], v[108:109]
	v_fma_f64 v[46:47], v[8:9], v[106:107], -v[12:13]
	v_mul_f64 v[98:99], v[8:9], v[108:109]
	v_accvgpr_write_b32 a82, v116
	v_accvgpr_write_b32 a83, v117
	;; [unrolled: 1-line block ×5, first 2 shown]
	s_waitcnt vmcnt(11) lgkmcnt(12)
	v_mul_f64 v[8:9], v[90:91], v[208:209]
	v_fma_f64 v[114:115], v[88:89], v[206:207], -v[8:9]
	s_waitcnt vmcnt(10) lgkmcnt(11)
	v_mul_f64 v[8:9], v[86:87], v[112:113]
	v_fma_f64 v[116:117], v[84:85], v[110:111], -v[8:9]
	s_waitcnt lgkmcnt(10)
	v_mul_f64 v[8:9], v[82:83], v[192:193]
	v_accvgpr_write_b32 a154, v108
	v_accvgpr_write_b32 a153, v107
	;; [unrolled: 1-line block ×3, first 2 shown]
	v_mul_f64 v[108:109], v[84:85], v[112:113]
	v_accvgpr_write_b32 a141, v113
	v_fma_f64 v[118:119], v[80:81], v[190:191], -v[8:9]
	s_waitcnt vmcnt(9) lgkmcnt(9)
	v_mul_f64 v[8:9], v[78:79], v[224:225]
	v_accvgpr_write_b32 a140, v112
	v_accvgpr_write_b32 a139, v111
	;; [unrolled: 1-line block ×3, first 2 shown]
	v_fmac_f64_e32 v[108:109], v[86:87], v[110:111]
	v_mul_f64 v[110:111], v[80:81], v[192:193]
	v_fma_f64 v[80:81], v[76:77], v[222:223], -v[8:9]
	s_waitcnt vmcnt(8) lgkmcnt(8)
	v_mul_f64 v[8:9], v[74:75], v[220:221]
	v_fmac_f64_e32 v[110:111], v[82:83], v[190:191]
	v_fma_f64 v[82:83], v[72:73], v[218:219], -v[8:9]
	s_waitcnt vmcnt(6) lgkmcnt(7)
	v_mul_f64 v[8:9], v[70:71], v[212:213]
	v_fma_f64 v[84:85], v[68:69], v[210:211], -v[8:9]
	s_waitcnt lgkmcnt(6)
	v_mul_f64 v[8:9], v[66:67], v[96:97]
	v_fmac_f64_e32 v[98:99], v[10:11], v[106:107]
	v_mul_f64 v[106:107], v[88:89], v[208:209]
	v_mul_f64 v[76:77], v[76:77], v[224:225]
	v_fma_f64 v[88:89], v[64:65], v[94:95], -v[8:9]
	s_waitcnt vmcnt(5) lgkmcnt(5)
	v_mul_f64 v[8:9], v[62:63], v[240:241]
	v_fmac_f64_e32 v[76:77], v[78:79], v[222:223]
	v_mul_f64 v[78:79], v[64:65], v[96:97]
	v_fma_f64 v[64:65], v[60:61], v[238:239], -v[8:9]
	s_waitcnt vmcnt(4) lgkmcnt(4)
	v_mul_f64 v[8:9], v[58:59], v[236:237]
	v_mul_f64 v[72:73], v[72:73], v[220:221]
	v_fmac_f64_e32 v[78:79], v[66:67], v[94:95]
	v_fma_f64 v[66:67], v[56:57], v[234:235], -v[8:9]
	s_waitcnt vmcnt(2) lgkmcnt(3)
	v_mul_f64 v[8:9], v[54:55], v[232:233]
	v_fmac_f64_e32 v[72:73], v[74:75], v[218:219]
	v_mul_f64 v[74:75], v[68:69], v[212:213]
	v_fma_f64 v[68:69], v[52:53], v[230:231], -v[8:9]
	s_waitcnt lgkmcnt(2)
	v_mul_f64 v[8:9], v[50:51], v[228:229]
	v_fmac_f64_e32 v[74:75], v[70:71], v[210:211]
	v_fma_f64 v[70:71], v[48:49], v[226:227], -v[8:9]
	s_waitcnt vmcnt(1) lgkmcnt(1)
	v_mul_f64 v[8:9], v[6:7], v[248:249]
	v_mul_f64 v[86:87], v[4:5], v[248:249]
	v_fma_f64 v[92:93], v[4:5], v[246:247], -v[8:9]
	v_fmac_f64_e32 v[86:87], v[6:7], v[246:247]
	global_load_dwordx4 v[6:9], v[100:101], off offset:1152
	v_fmac_f64_e32 v[106:107], v[90:91], v[206:207]
	v_accvgpr_write_b32 a159, v97
	s_waitcnt vmcnt(1) lgkmcnt(0)
	v_mul_f64 v[4:5], v[2:3], v[244:245]
	v_mul_f64 v[90:91], v[0:1], v[244:245]
	v_accvgpr_write_b32 a158, v96
	v_accvgpr_write_b32 a157, v95
	;; [unrolled: 1-line block ×3, first 2 shown]
	v_fma_f64 v[96:97], v[0:1], v[242:243], -v[4:5]
	v_fmac_f64_e32 v[90:91], v[2:3], v[242:243]
	ds_read_b128 v[0:3], v196 offset:23760
	v_fmac_f64_e32 v[34:35], v[26:27], v[166:167]
	ds_read_b128 v[24:27], v196
	v_fmac_f64_e32 v[150:151], v[30:31], v[170:171]
	v_fmac_f64_e32 v[36:37], v[22:23], v[202:203]
	;; [unrolled: 1-line block ×4, first 2 shown]
	v_mul_f64 v[60:61], v[60:61], v[240:241]
	v_mul_f64 v[56:57], v[56:57], v[236:237]
	v_accvgpr_write_b32 a114, v170
	v_accvgpr_write_b32 a110, v166
	v_fmac_f64_e32 v[60:61], v[62:63], v[238:239]
	v_fmac_f64_e32 v[56:57], v[58:59], v[234:235]
	v_mul_f64 v[58:59], v[52:53], v[232:233]
	v_mul_f64 v[62:63], v[48:49], v[228:229]
	v_accvgpr_write_b32 a115, v171
	v_accvgpr_write_b32 a116, v172
	;; [unrolled: 1-line block ×6, first 2 shown]
	v_fmac_f64_e32 v[62:63], v[50:51], v[226:227]
	v_add_f64 v[48:49], v[128:129], -v[130:131]
	v_add_f64 v[50:51], v[142:143], -v[138:139]
	;; [unrolled: 1-line block ×4, first 2 shown]
	v_fmac_f64_e32 v[58:59], v[54:55], v[230:231]
	v_add_f64 v[54:55], v[48:49], v[50:51]
	v_add_f64 v[168:169], v[130:131], -v[138:139]
	v_add_f64 v[172:173], v[134:135], -v[136:137]
	v_cmp_lt_u16_e32 vcc, 21, v174
	s_movk_i32 s2, 0x181
	s_movk_i32 s11, 0x17a0
	v_accvgpr_write_b32 a142, v206
	v_accvgpr_write_b32 a160, v210
	;; [unrolled: 1-line block ×37, first 2 shown]
	s_waitcnt vmcnt(0) lgkmcnt(1)
	v_mul_f64 v[4:5], v[2:3], v[8:9]
	v_mul_f64 v[94:95], v[0:1], v[8:9]
	v_accvgpr_write_b32 a213, v9
	v_fma_f64 v[102:103], v[0:1], v[6:7], -v[4:5]
	v_accvgpr_write_b32 a212, v8
	v_accvgpr_write_b32 a211, v7
	;; [unrolled: 1-line block ×3, first 2 shown]
	v_fmac_f64_e32 v[94:95], v[2:3], v[6:7]
	global_load_dwordx4 v[6:9], v[100:101], off offset:1168
	ds_read_b128 v[0:3], v196 offset:29920
	v_accvgpr_write_b32 a188, v242
	v_accvgpr_write_b32 a193, v247
	v_accvgpr_write_b32 a194, v248
	v_accvgpr_write_b32 a195, v249
	v_accvgpr_write_b32 a189, v243
	v_accvgpr_write_b32 a190, v244
	v_accvgpr_write_b32 a191, v245
	v_accvgpr_write_b32 a122, v182
	v_accvgpr_write_b32 a148, v202
	v_accvgpr_write_b32 a126, v186
	v_accvgpr_write_b32 a130, v190
	v_accvgpr_write_b32 a123, v183
	v_accvgpr_write_b32 a124, v184
	v_accvgpr_write_b32 a125, v185
	v_accvgpr_write_b32 a149, v203
	v_accvgpr_write_b32 a150, v204
	v_accvgpr_write_b32 a151, v205
	v_accvgpr_write_b32 a127, v187
	v_accvgpr_write_b32 a128, v188
	v_accvgpr_write_b32 a129, v189
	v_accvgpr_write_b32 a131, v191
	v_accvgpr_write_b32 a132, v192
	v_accvgpr_write_b32 a133, v193
	s_waitcnt vmcnt(0) lgkmcnt(0)
	v_mul_f64 v[4:5], v[2:3], v[8:9]
	v_mul_f64 v[100:101], v[0:1], v[8:9]
	v_fma_f64 v[112:113], v[0:1], v[6:7], -v[4:5]
	v_fmac_f64_e32 v[100:101], v[2:3], v[6:7]
	v_add_f64 v[0:1], v[24:25], v[132:133]
	v_add_f64 v[2:3], v[26:27], v[128:129]
	;; [unrolled: 1-line block ×6, first 2 shown]
	v_accvgpr_write_b32 a199, v9
	v_add_f64 v[28:29], v[0:1], v[144:145]
	v_add_f64 v[30:31], v[2:3], v[142:143]
	v_accvgpr_write_b32 a198, v8
	v_accvgpr_write_b32 a197, v7
	;; [unrolled: 1-line block ×3, first 2 shown]
	ds_read_b128 v[20:23], v196 offset:880
	ds_read_b128 v[16:19], v196 offset:1760
	;; [unrolled: 1-line block ×6, first 2 shown]
	s_waitcnt lgkmcnt(0)
	; wave barrier
	s_waitcnt lgkmcnt(0)
	ds_write_b128 v196, v[28:31]
	v_add_f64 v[28:29], v[132:133], -v[134:135]
	v_add_f64 v[30:31], v[144:145], -v[136:137]
	v_add_f64 v[52:53], v[28:29], v[30:31]
	v_add_f64 v[28:29], v[134:135], v[136:137]
	v_add_f64 v[30:31], v[130:131], v[138:139]
	v_fma_f64 v[28:29], -0.5, v[28:29], v[24:25]
	v_fma_f64 v[30:31], -0.5, v[30:31], v[26:27]
	v_fma_f64 v[48:49], s[14:15], v[166:167], v[28:29]
	v_fma_f64 v[50:51], s[20:21], v[170:171], v[30:31]
	v_fmac_f64_e32 v[48:49], s[16:17], v[168:169]
	v_fmac_f64_e32 v[50:51], s[22:23], v[172:173]
	;; [unrolled: 1-line block ×4, first 2 shown]
	ds_write_b128 v196, v[48:51] offset:1232
	v_add_f64 v[48:49], v[132:133], v[144:145]
	v_fmac_f64_e32 v[24:25], -0.5, v[48:49]
	v_add_f64 v[48:49], v[134:135], -v[132:133]
	v_add_f64 v[50:51], v[136:137], -v[144:145]
	v_add_f64 v[132:133], v[48:49], v[50:51]
	v_add_f64 v[48:49], v[128:129], v[142:143]
	v_fmac_f64_e32 v[26:27], -0.5, v[48:49]
	v_add_f64 v[48:49], v[130:131], -v[128:129]
	v_add_f64 v[50:51], v[138:139], -v[142:143]
	v_add_f64 v[128:129], v[48:49], v[50:51]
	v_fma_f64 v[48:49], s[20:21], v[168:169], v[24:25]
	v_fma_f64 v[50:51], s[14:15], v[172:173], v[26:27]
	v_fmac_f64_e32 v[24:25], s[14:15], v[168:169]
	v_fmac_f64_e32 v[26:27], s[20:21], v[172:173]
	v_fmac_f64_e32 v[24:25], s[22:23], v[166:167]
	v_fmac_f64_e32 v[26:27], s[16:17], v[170:171]
	v_fmac_f64_e32 v[28:29], s[20:21], v[166:167]
	v_fmac_f64_e32 v[30:31], s[14:15], v[170:171]
	v_fmac_f64_e32 v[24:25], s[18:19], v[132:133]
	v_fmac_f64_e32 v[26:27], s[18:19], v[128:129]
	v_fmac_f64_e32 v[28:29], s[22:23], v[168:169]
	v_fmac_f64_e32 v[30:31], s[16:17], v[172:173]
	ds_write_b128 v196, v[24:27] offset:3696
	v_fmac_f64_e32 v[28:29], s[18:19], v[52:53]
	v_fmac_f64_e32 v[30:31], s[18:19], v[54:55]
	v_add_f64 v[24:25], v[20:21], v[140:141]
	v_add_f64 v[26:27], v[22:23], v[40:41]
	ds_write_b128 v196, v[28:31] offset:4928
	v_add_f64 v[24:25], v[24:25], v[146:147]
	v_add_f64 v[26:27], v[26:27], v[42:43]
	v_mov_b32_e32 v28, 0x181
	v_fmac_f64_e32 v[48:49], s[16:17], v[166:167]
	v_fmac_f64_e32 v[50:51], s[22:23], v[170:171]
	v_add_f64 v[24:25], v[24:25], v[148:149]
	v_add_f64 v[26:27], v[26:27], v[32:33]
	v_cndmask_b32_e32 v28, 0, v28, vcc
	v_fmac_f64_e32 v[48:49], s[18:19], v[132:133]
	v_fmac_f64_e32 v[50:51], s[18:19], v[128:129]
	v_add_f64 v[24:25], v[24:25], v[152:153]
	v_add_f64 v[26:27], v[26:27], v[150:151]
	v_add_lshl_u32 v132, v104, v28, 4
	ds_write_b128 v196, v[48:51] offset:2464
	ds_write_b128 v132, v[24:27]
	v_add_f64 v[24:25], v[140:141], -v[146:147]
	v_add_f64 v[26:27], v[152:153], -v[148:149]
	v_add_f64 v[48:49], v[24:25], v[26:27]
	v_add_f64 v[24:25], v[146:147], v[148:149]
	;; [unrolled: 1-line block ×3, first 2 shown]
	v_fma_f64 v[24:25], -0.5, v[24:25], v[20:21]
	v_fma_f64 v[26:27], -0.5, v[26:27], v[22:23]
	v_add_f64 v[28:29], v[40:41], -v[42:43]
	v_add_f64 v[30:31], v[150:151], -v[32:33]
	;; [unrolled: 1-line block ×4, first 2 shown]
	v_add_f64 v[50:51], v[28:29], v[30:31]
	v_add_f64 v[54:55], v[42:43], -v[32:33]
	v_fma_f64 v[28:29], s[14:15], v[52:53], v[24:25]
	v_fma_f64 v[30:31], s[20:21], v[104:105], v[26:27]
	v_add_f64 v[128:129], v[146:147], -v[148:149]
	v_fmac_f64_e32 v[28:29], s[16:17], v[54:55]
	v_fmac_f64_e32 v[30:31], s[22:23], v[128:129]
	;; [unrolled: 1-line block ×4, first 2 shown]
	ds_write_b128 v132, v[28:31] offset:1232
	v_add_f64 v[28:29], v[140:141], v[152:153]
	v_fmac_f64_e32 v[20:21], -0.5, v[28:29]
	v_add_f64 v[28:29], v[146:147], -v[140:141]
	v_add_f64 v[30:31], v[148:149], -v[152:153]
	v_add_f64 v[130:131], v[28:29], v[30:31]
	v_add_f64 v[28:29], v[40:41], v[150:151]
	v_fmac_f64_e32 v[22:23], -0.5, v[28:29]
	v_add_f64 v[28:29], v[42:43], -v[40:41]
	v_add_f64 v[30:31], v[32:33], -v[150:151]
	v_add_f64 v[32:33], v[28:29], v[30:31]
	v_fma_f64 v[28:29], s[20:21], v[54:55], v[20:21]
	v_fma_f64 v[30:31], s[14:15], v[128:129], v[22:23]
	v_fmac_f64_e32 v[20:21], s[14:15], v[54:55]
	v_fmac_f64_e32 v[22:23], s[20:21], v[128:129]
	;; [unrolled: 1-line block ×8, first 2 shown]
	ds_write_b128 v132, v[20:23] offset:3696
	v_add_f64 v[20:21], v[120:121], -v[122:123]
	v_add_f64 v[22:23], v[126:127], -v[124:125]
	v_fmac_f64_e32 v[28:29], s[18:19], v[130:131]
	v_fmac_f64_e32 v[30:31], s[18:19], v[32:33]
	v_add_f64 v[22:23], v[20:21], v[22:23]
	v_add_f64 v[20:21], v[122:123], v[124:125]
	ds_write_b128 v132, v[28:31] offset:2464
	v_fma_f64 v[20:21], -0.5, v[20:21], v[16:17]
	v_add_f64 v[30:31], v[34:35], -v[44:45]
	v_add_f64 v[40:41], v[36:37], -v[38:39]
	v_fma_f64 v[28:29], s[14:15], v[30:31], v[20:21]
	v_fmac_f64_e32 v[20:21], s[20:21], v[30:31]
	v_fmac_f64_e32 v[28:29], s[16:17], v[40:41]
	;; [unrolled: 1-line block ×3, first 2 shown]
	v_add_f64 v[32:33], v[120:121], v[126:127]
	v_fmac_f64_e32 v[28:29], s[18:19], v[22:23]
	v_fmac_f64_e32 v[20:21], s[18:19], v[22:23]
	v_add_f64 v[22:23], v[16:17], v[120:121]
	v_fmac_f64_e32 v[16:17], -0.5, v[32:33]
	v_add_f64 v[32:33], v[122:123], -v[120:121]
	v_add_f64 v[42:43], v[124:125], -v[126:127]
	v_add_f64 v[42:43], v[32:33], v[42:43]
	v_fma_f64 v[32:33], s[20:21], v[40:41], v[16:17]
	v_fmac_f64_e32 v[16:17], s[14:15], v[40:41]
	v_fmac_f64_e32 v[32:33], s[16:17], v[30:31]
	v_fmac_f64_e32 v[16:17], s[22:23], v[30:31]
	v_add_f64 v[22:23], v[22:23], v[122:123]
	v_add_f64 v[30:31], v[18:19], v[34:35]
	v_fmac_f64_e32 v[24:25], s[20:21], v[52:53]
	v_add_f64 v[22:23], v[22:23], v[124:125]
	v_add_f64 v[30:31], v[30:31], v[36:37]
	v_fmac_f64_e32 v[24:25], s[22:23], v[54:55]
	v_fmac_f64_e32 v[26:27], s[14:15], v[104:105]
	v_add_f64 v[30:31], v[30:31], v[38:39]
	v_add_f64 v[40:41], v[22:23], v[126:127]
	;; [unrolled: 1-line block ×3, first 2 shown]
	v_fmac_f64_e32 v[24:25], s[18:19], v[48:49]
	v_fmac_f64_e32 v[26:27], s[16:17], v[128:129]
	;; [unrolled: 1-line block ×4, first 2 shown]
	v_add_f64 v[42:43], v[30:31], v[44:45]
	v_fma_f64 v[22:23], -0.5, v[22:23], v[18:19]
	v_add_f64 v[48:49], v[120:121], -v[126:127]
	v_add_f64 v[30:31], v[34:35], -v[36:37]
	;; [unrolled: 1-line block ×3, first 2 shown]
	v_fmac_f64_e32 v[26:27], s[18:19], v[50:51]
	v_add_f64 v[50:51], v[122:123], -v[124:125]
	v_add_f64 v[52:53], v[30:31], v[52:53]
	v_fma_f64 v[30:31], s[20:21], v[48:49], v[22:23]
	v_fmac_f64_e32 v[22:23], s[14:15], v[48:49]
	v_fmac_f64_e32 v[30:31], s[22:23], v[50:51]
	;; [unrolled: 1-line block ×5, first 2 shown]
	v_add_f64 v[52:53], v[34:35], v[44:45]
	v_fmac_f64_e32 v[18:19], -0.5, v[52:53]
	v_add_f64 v[34:35], v[36:37], -v[34:35]
	v_add_f64 v[36:37], v[38:39], -v[44:45]
	v_add_f64 v[36:37], v[34:35], v[36:37]
	v_fma_f64 v[34:35], s[14:15], v[50:51], v[18:19]
	v_fmac_f64_e32 v[18:19], s[20:21], v[50:51]
	v_fmac_f64_e32 v[34:35], s[22:23], v[48:49]
	;; [unrolled: 1-line block ×5, first 2 shown]
	v_add_f64 v[36:37], v[46:47], -v[114:115]
	v_add_f64 v[38:39], v[118:119], -v[116:117]
	v_add_f64 v[38:39], v[36:37], v[38:39]
	v_add_f64 v[36:37], v[114:115], v[116:117]
	v_fma_f64 v[36:37], -0.5, v[36:37], v[12:13]
	v_add_f64 v[50:51], v[98:99], -v[110:111]
	v_add_f64 v[52:53], v[106:107], -v[108:109]
	v_fma_f64 v[44:45], s[14:15], v[50:51], v[36:37]
	v_fmac_f64_e32 v[36:37], s[20:21], v[50:51]
	v_fmac_f64_e32 v[44:45], s[16:17], v[52:53]
	;; [unrolled: 1-line block ×3, first 2 shown]
	v_add_f64 v[48:49], v[46:47], v[118:119]
	v_fmac_f64_e32 v[44:45], s[18:19], v[38:39]
	v_fmac_f64_e32 v[36:37], s[18:19], v[38:39]
	v_add_f64 v[38:39], v[12:13], v[46:47]
	v_fmac_f64_e32 v[12:13], -0.5, v[48:49]
	v_add_f64 v[48:49], v[114:115], -v[46:47]
	v_add_f64 v[54:55], v[116:117], -v[118:119]
	v_add_f64 v[54:55], v[48:49], v[54:55]
	v_fma_f64 v[48:49], s[20:21], v[52:53], v[12:13]
	v_fmac_f64_e32 v[12:13], s[14:15], v[52:53]
	v_fmac_f64_e32 v[48:49], s[16:17], v[50:51]
	;; [unrolled: 1-line block ×3, first 2 shown]
	v_add_f64 v[38:39], v[38:39], v[114:115]
	v_add_f64 v[50:51], v[14:15], v[98:99]
	;; [unrolled: 1-line block ×7, first 2 shown]
	v_fmac_f64_e32 v[48:49], s[18:19], v[54:55]
	v_fmac_f64_e32 v[12:13], s[18:19], v[54:55]
	v_add_f64 v[54:55], v[50:51], v[110:111]
	v_fma_f64 v[38:39], -0.5, v[38:39], v[14:15]
	v_add_f64 v[104:105], v[46:47], -v[118:119]
	v_add_f64 v[46:47], v[98:99], -v[106:107]
	;; [unrolled: 1-line block ×4, first 2 shown]
	v_add_f64 v[50:51], v[46:47], v[50:51]
	v_fma_f64 v[46:47], s[20:21], v[104:105], v[38:39]
	v_fmac_f64_e32 v[38:39], s[14:15], v[104:105]
	v_fmac_f64_e32 v[46:47], s[22:23], v[114:115]
	;; [unrolled: 1-line block ×5, first 2 shown]
	v_add_f64 v[50:51], v[98:99], v[110:111]
	v_fmac_f64_e32 v[14:15], -0.5, v[50:51]
	v_add_f64 v[50:51], v[106:107], -v[98:99]
	v_add_f64 v[98:99], v[108:109], -v[110:111]
	v_add_f64 v[98:99], v[50:51], v[98:99]
	v_fma_f64 v[50:51], s[14:15], v[114:115], v[14:15]
	v_fmac_f64_e32 v[14:15], s[20:21], v[114:115]
	v_fmac_f64_e32 v[50:51], s[22:23], v[104:105]
	;; [unrolled: 1-line block ×5, first 2 shown]
	v_add_f64 v[98:99], v[80:81], -v[82:83]
	v_add_f64 v[104:105], v[88:89], -v[84:85]
	v_add_f64 v[98:99], v[98:99], v[104:105]
	v_add_f64 v[104:105], v[82:83], v[84:85]
	v_fma_f64 v[104:105], -0.5, v[104:105], v[8:9]
	v_add_f64 v[106:107], v[76:77], -v[78:79]
	v_add_f64 v[110:111], v[72:73], -v[74:75]
	v_fma_f64 v[108:109], s[14:15], v[106:107], v[104:105]
	v_fmac_f64_e32 v[104:105], s[20:21], v[106:107]
	v_fmac_f64_e32 v[108:109], s[16:17], v[110:111]
	;; [unrolled: 1-line block ×3, first 2 shown]
	v_add_f64 v[114:115], v[80:81], v[88:89]
	v_fmac_f64_e32 v[108:109], s[18:19], v[98:99]
	v_fmac_f64_e32 v[104:105], s[18:19], v[98:99]
	v_add_f64 v[98:99], v[8:9], v[80:81]
	v_fmac_f64_e32 v[8:9], -0.5, v[114:115]
	v_add_f64 v[114:115], v[82:83], -v[80:81]
	v_add_f64 v[116:117], v[84:85], -v[88:89]
	v_add_f64 v[116:117], v[114:115], v[116:117]
	v_fma_f64 v[114:115], s[20:21], v[110:111], v[8:9]
	v_fmac_f64_e32 v[8:9], s[14:15], v[110:111]
	v_fmac_f64_e32 v[114:115], s[16:17], v[106:107]
	;; [unrolled: 1-line block ×3, first 2 shown]
	v_add_f64 v[98:99], v[98:99], v[82:83]
	v_add_f64 v[106:107], v[10:11], v[76:77]
	;; [unrolled: 1-line block ×8, first 2 shown]
	v_fma_f64 v[106:107], -0.5, v[98:99], v[10:11]
	v_add_f64 v[80:81], v[80:81], -v[88:89]
	v_add_f64 v[82:83], v[82:83], -v[84:85]
	;; [unrolled: 1-line block ×4, first 2 shown]
	v_fma_f64 v[110:111], s[20:21], v[80:81], v[106:107]
	v_fmac_f64_e32 v[106:107], s[14:15], v[80:81]
	v_add_f64 v[84:85], v[84:85], v[88:89]
	v_fmac_f64_e32 v[110:111], s[22:23], v[82:83]
	v_fmac_f64_e32 v[106:107], s[16:17], v[82:83]
	;; [unrolled: 1-line block ×4, first 2 shown]
	v_add_f64 v[84:85], v[76:77], v[78:79]
	v_fmac_f64_e32 v[10:11], -0.5, v[84:85]
	v_fmac_f64_e32 v[114:115], s[18:19], v[116:117]
	v_fmac_f64_e32 v[8:9], s[18:19], v[116:117]
	v_add_f64 v[72:73], v[72:73], -v[76:77]
	v_add_f64 v[74:75], v[74:75], -v[78:79]
	v_fma_f64 v[116:117], s[14:15], v[82:83], v[10:11]
	v_fmac_f64_e32 v[10:11], s[20:21], v[82:83]
	v_add_f64 v[72:73], v[72:73], v[74:75]
	v_fmac_f64_e32 v[116:117], s[22:23], v[80:81]
	v_fmac_f64_e32 v[10:11], s[16:17], v[80:81]
	;; [unrolled: 1-line block ×4, first 2 shown]
	v_add_f64 v[72:73], v[64:65], -v[66:67]
	v_add_f64 v[74:75], v[70:71], -v[68:69]
	v_add_f64 v[74:75], v[72:73], v[74:75]
	v_add_f64 v[72:73], v[66:67], v[68:69]
	v_fma_f64 v[72:73], -0.5, v[72:73], v[4:5]
	v_add_f64 v[78:79], v[60:61], -v[62:63]
	v_add_f64 v[82:83], v[56:57], -v[58:59]
	v_fma_f64 v[76:77], s[14:15], v[78:79], v[72:73]
	v_fmac_f64_e32 v[72:73], s[20:21], v[78:79]
	v_fmac_f64_e32 v[76:77], s[16:17], v[82:83]
	;; [unrolled: 1-line block ×3, first 2 shown]
	v_add_f64 v[80:81], v[64:65], v[70:71]
	v_fmac_f64_e32 v[76:77], s[18:19], v[74:75]
	v_fmac_f64_e32 v[72:73], s[18:19], v[74:75]
	v_add_f64 v[74:75], v[4:5], v[64:65]
	v_fmac_f64_e32 v[4:5], -0.5, v[80:81]
	v_add_f64 v[80:81], v[66:67], -v[64:65]
	v_add_f64 v[84:85], v[68:69], -v[70:71]
	v_add_f64 v[84:85], v[80:81], v[84:85]
	v_fma_f64 v[80:81], s[20:21], v[82:83], v[4:5]
	v_fmac_f64_e32 v[4:5], s[14:15], v[82:83]
	v_add_f64 v[74:75], v[74:75], v[66:67]
	v_fmac_f64_e32 v[80:81], s[16:17], v[78:79]
	v_fmac_f64_e32 v[4:5], s[22:23], v[78:79]
	v_add_f64 v[74:75], v[74:75], v[68:69]
	v_add_f64 v[78:79], v[6:7], v[60:61]
	v_add_f64 v[78:79], v[78:79], v[56:57]
	v_add_f64 v[122:123], v[74:75], v[70:71]
	v_add_f64 v[74:75], v[56:57], v[58:59]
	v_add_f64 v[78:79], v[78:79], v[58:59]
	v_fma_f64 v[74:75], -0.5, v[74:75], v[6:7]
	v_add_f64 v[64:65], v[64:65], -v[70:71]
	v_add_f64 v[124:125], v[78:79], v[62:63]
	v_add_f64 v[66:67], v[66:67], -v[68:69]
	v_add_f64 v[68:69], v[60:61], -v[56:57]
	;; [unrolled: 1-line block ×3, first 2 shown]
	v_fma_f64 v[78:79], s[20:21], v[64:65], v[74:75]
	v_fmac_f64_e32 v[74:75], s[14:15], v[64:65]
	v_add_f64 v[68:69], v[68:69], v[70:71]
	v_fmac_f64_e32 v[78:79], s[22:23], v[66:67]
	v_fmac_f64_e32 v[74:75], s[16:17], v[66:67]
	;; [unrolled: 1-line block ×4, first 2 shown]
	v_add_f64 v[68:69], v[60:61], v[62:63]
	v_fmac_f64_e32 v[6:7], -0.5, v[68:69]
	v_add_f64 v[56:57], v[56:57], -v[60:61]
	v_add_f64 v[58:59], v[58:59], -v[62:63]
	v_fma_f64 v[82:83], s[14:15], v[66:67], v[6:7]
	v_fmac_f64_e32 v[6:7], s[20:21], v[66:67]
	v_add_f64 v[56:57], v[56:57], v[58:59]
	v_fmac_f64_e32 v[82:83], s[22:23], v[64:65]
	v_fmac_f64_e32 v[6:7], s[16:17], v[64:65]
	;; [unrolled: 1-line block ×4, first 2 shown]
	v_add_f64 v[56:57], v[92:93], -v[96:97]
	v_add_f64 v[58:59], v[112:113], -v[102:103]
	v_add_f64 v[58:59], v[56:57], v[58:59]
	v_add_f64 v[56:57], v[96:97], v[102:103]
	v_fma_f64 v[56:57], -0.5, v[56:57], v[0:1]
	v_add_f64 v[62:63], v[86:87], -v[100:101]
	v_add_f64 v[66:67], v[90:91], -v[94:95]
	v_fma_f64 v[60:61], s[14:15], v[62:63], v[56:57]
	v_fmac_f64_e32 v[56:57], s[20:21], v[62:63]
	v_fmac_f64_e32 v[60:61], s[16:17], v[66:67]
	;; [unrolled: 1-line block ×3, first 2 shown]
	v_add_f64 v[64:65], v[92:93], v[112:113]
	v_fmac_f64_e32 v[60:61], s[18:19], v[58:59]
	v_fmac_f64_e32 v[56:57], s[18:19], v[58:59]
	v_add_f64 v[58:59], v[0:1], v[92:93]
	v_fmac_f64_e32 v[0:1], -0.5, v[64:65]
	v_add_f64 v[64:65], v[96:97], -v[92:93]
	v_add_f64 v[68:69], v[102:103], -v[112:113]
	v_add_f64 v[68:69], v[64:65], v[68:69]
	v_fma_f64 v[64:65], s[20:21], v[66:67], v[0:1]
	v_fmac_f64_e32 v[0:1], s[14:15], v[66:67]
	v_fmac_f64_e32 v[64:65], s[16:17], v[62:63]
	;; [unrolled: 1-line block ×3, first 2 shown]
	v_add_f64 v[58:59], v[58:59], v[96:97]
	v_add_f64 v[62:63], v[2:3], v[86:87]
	;; [unrolled: 1-line block ×4, first 2 shown]
	v_fmac_f64_e32 v[64:65], s[18:19], v[68:69]
	v_fmac_f64_e32 v[0:1], s[18:19], v[68:69]
	v_add_f64 v[62:63], v[62:63], v[94:95]
	v_add_f64 v[68:69], v[58:59], v[112:113]
	;; [unrolled: 1-line block ×3, first 2 shown]
	ds_write_b128 v132, v[24:27] offset:4928
	v_mul_u32_u24_e32 v24, 0x181, v156
	v_fmac_f64_e32 v[80:81], s[18:19], v[84:85]
	v_fmac_f64_e32 v[4:5], s[18:19], v[84:85]
	v_add_f64 v[70:71], v[62:63], v[100:101]
	v_fma_f64 v[58:59], -0.5, v[58:59], v[2:3]
	v_add_f64 v[84:85], v[92:93], -v[112:113]
	v_add_f64 v[62:63], v[86:87], -v[90:91]
	;; [unrolled: 1-line block ×3, first 2 shown]
	v_add_lshl_u32 v24, v24, v157, 4
	v_add_f64 v[88:89], v[96:97], -v[102:103]
	v_add_f64 v[66:67], v[62:63], v[66:67]
	v_fma_f64 v[62:63], s[20:21], v[84:85], v[58:59]
	v_fmac_f64_e32 v[58:59], s[14:15], v[84:85]
	ds_write_b128 v24, v[40:43]
	ds_write_b128 v24, v[28:31] offset:1232
	ds_write_b128 v24, v[32:35] offset:2464
	;; [unrolled: 1-line block ×3, first 2 shown]
	v_mov_b32_e32 v16, 4
	v_fmac_f64_e32 v[62:63], s[22:23], v[88:89]
	v_fmac_f64_e32 v[58:59], s[16:17], v[88:89]
	v_lshlrev_b32_sdwa v16, v16, v155 dst_sel:DWORD dst_unused:UNUSED_PAD src0_sel:DWORD src1_sel:BYTE_0
	v_fmac_f64_e32 v[62:63], s[18:19], v[66:67]
	v_fmac_f64_e32 v[58:59], s[18:19], v[66:67]
	v_add_f64 v[66:67], v[86:87], v[100:101]
	ds_write_b128 v24, v[20:23] offset:4928
	ds_write_b128 v16, v[52:55] offset:12320
	;; [unrolled: 1-line block ×5, first 2 shown]
	v_mad_legacy_u16 v12, v158, s2, v159
	v_fmac_f64_e32 v[2:3], -0.5, v[66:67]
	v_add_f64 v[66:67], v[90:91], -v[86:87]
	v_add_f64 v[86:87], v[94:95], -v[100:101]
	v_lshlrev_b32_e32 v12, 4, v12
	v_add_f64 v[86:87], v[66:67], v[86:87]
	v_fma_f64 v[66:67], s[14:15], v[88:89], v[2:3]
	v_fmac_f64_e32 v[2:3], s[20:21], v[88:89]
	ds_write_b128 v16, v[36:39] offset:17248
	ds_write_b128 v12, v[118:121]
	ds_write_b128 v12, v[108:111] offset:1232
	ds_write_b128 v12, v[114:117] offset:2464
	;; [unrolled: 1-line block ×3, first 2 shown]
	v_mad_legacy_u16 v8, v163, s2, v164
	v_fmac_f64_e32 v[66:67], s[22:23], v[84:85]
	v_fmac_f64_e32 v[2:3], s[16:17], v[84:85]
	v_add_co_u32_e32 v84, vcc, s10, v154
	v_lshlrev_b32_e32 v8, 4, v8
	v_fmac_f64_e32 v[2:3], s[18:19], v[86:87]
	v_addc_co_u32_e32 v85, vcc, 0, v160, vcc
	ds_write_b128 v12, v[104:107] offset:4928
	ds_write_b128 v8, v[122:125]
	ds_write_b128 v8, v[76:79] offset:1232
	ds_write_b128 v8, v[80:83] offset:2464
	;; [unrolled: 1-line block ×3, first 2 shown]
	v_lshlrev_b32_e32 v4, 4, v165
	v_fmac_f64_e32 v[66:67], s[18:19], v[86:87]
	ds_write_b128 v8, v[72:75] offset:4928
	ds_write_b128 v4, v[68:71] offset:24640
	;; [unrolled: 1-line block ×5, first 2 shown]
	v_add_co_u32_e32 v0, vcc, s11, v84
	v_add_co_u32_e64 v2, s[2:3], s24, v84
	v_addc_co_u32_e64 v3, s[2:3], 0, v85, s[2:3]
	v_addc_co_u32_e32 v1, vcc, 0, v85, vcc
	ds_write_b128 v4, v[56:59] offset:29568
	s_waitcnt lgkmcnt(0)
	; wave barrier
	s_waitcnt lgkmcnt(0)
	global_load_dwordx4 v[64:67], v[2:3], off offset:1952
	global_load_dwordx4 v[56:59], v[0:1], off offset:48
	;; [unrolled: 1-line block ×4, first 2 shown]
	v_lshlrev_b32_e32 v0, 6, v176
	v_add_co_u32_e32 v1, vcc, s10, v0
	v_accvgpr_write_b32 a230, v4
	v_addc_co_u32_e32 v4, vcc, 0, v160, vcc
	v_add_co_u32_e32 v0, vcc, s11, v1
	v_add_co_u32_e64 v2, s[2:3], s24, v1
	v_addc_co_u32_e64 v3, s[2:3], 0, v4, s[2:3]
	v_addc_co_u32_e32 v1, vcc, 0, v4, vcc
	global_load_dwordx4 v[76:79], v[2:3], off offset:1952
	global_load_dwordx4 v[72:75], v[0:1], off offset:48
	global_load_dwordx4 v[84:87], v[0:1], off offset:16
	global_load_dwordx4 v[80:83], v[0:1], off offset:32
	v_lshlrev_b32_e32 v0, 6, v194
	v_add_co_u32_e32 v2, vcc, s10, v0
	v_addc_co_u32_e32 v3, vcc, 0, v160, vcc
	v_add_co_u32_e32 v0, vcc, s24, v2
	v_addc_co_u32_e32 v1, vcc, 0, v3, vcc
	global_load_dwordx4 v[88:91], v[0:1], off offset:1952
	v_add_co_u32_e32 v0, vcc, s11, v2
	v_addc_co_u32_e32 v1, vcc, 0, v3, vcc
	global_load_dwordx4 v[100:103], v[0:1], off offset:16
	global_load_dwordx4 v[92:95], v[0:1], off offset:48
	;; [unrolled: 1-line block ×3, first 2 shown]
	v_lshlrev_b32_e32 v0, 6, v178
	v_add_co_u32_e32 v2, vcc, s10, v0
	v_addc_co_u32_e32 v3, vcc, 0, v160, vcc
	v_add_co_u32_e32 v0, vcc, s24, v2
	v_addc_co_u32_e32 v1, vcc, 0, v3, vcc
	global_load_dwordx4 v[104:107], v[0:1], off offset:1952
	v_add_co_u32_e32 v52, vcc, s11, v2
	v_addc_co_u32_e32 v53, vcc, 0, v3, vcc
	global_load_dwordx4 v[208:211], v[52:53], off offset:16
	v_accvgpr_write_b32 a45, v24
	v_accvgpr_write_b32 a208, v16
	;; [unrolled: 1-line block ×4, first 2 shown]
	ds_read_b128 v[0:3], v196 offset:6160
	ds_read_b128 v[4:7], v196 offset:12320
	;; [unrolled: 1-line block ×13, first 2 shown]
	global_load_dwordx4 v[212:215], v[52:53], off offset:32
	global_load_dwordx4 v[198:201], v[52:53], off offset:48
	v_accvgpr_write_b32 a209, v132
	s_movk_i32 s2, 0x7000
	s_waitcnt vmcnt(14) lgkmcnt(9)
	v_mul_f64 v[156:157], v[12:13], v[58:59]
	v_mul_f64 v[54:55], v[2:3], v[66:67]
	v_fma_f64 v[146:147], v[0:1], v[64:65], -v[54:55]
	v_mul_f64 v[144:145], v[0:1], v[66:67]
	s_waitcnt vmcnt(12)
	v_mul_f64 v[0:1], v[6:7], v[70:71]
	v_fma_f64 v[152:153], v[4:5], v[68:69], -v[0:1]
	v_mul_f64 v[0:1], v[10:11], v[62:63]
	v_fma_f64 v[154:155], v[8:9], v[60:61], -v[0:1]
	;; [unrolled: 2-line block ×3, first 2 shown]
	v_fmac_f64_e32 v[144:145], v[2:3], v[64:65]
	v_mul_f64 v[148:149], v[4:5], v[70:71]
	v_fmac_f64_e32 v[148:149], v[6:7], v[68:69]
	v_accvgpr_write_b32 a207, v71
	v_accvgpr_write_b32 a206, v70
	;; [unrolled: 1-line block ×4, first 2 shown]
	s_waitcnt vmcnt(11) lgkmcnt(8)
	v_mul_f64 v[0:1], v[18:19], v[78:79]
	v_fma_f64 v[130:131], v[16:17], v[76:77], -v[0:1]
	s_waitcnt vmcnt(9) lgkmcnt(7)
	v_mul_f64 v[0:1], v[22:23], v[86:87]
	v_fma_f64 v[136:137], v[20:21], v[84:85], -v[0:1]
	;; [unrolled: 3-line block ×3, first 2 shown]
	s_waitcnt lgkmcnt(5)
	v_mul_f64 v[0:1], v[30:31], v[74:75]
	v_fma_f64 v[142:143], v[28:29], v[72:73], -v[0:1]
	v_mul_f64 v[140:141], v[28:29], v[74:75]
	v_accvgpr_write_b32 a225, v75
	v_accvgpr_write_b32 a224, v74
	s_waitcnt vmcnt(7) lgkmcnt(4)
	v_mul_f64 v[0:1], v[34:35], v[90:91]
	v_fma_f64 v[114:115], v[32:33], v[88:89], -v[0:1]
	v_accvgpr_write_b32 a223, v73
	s_waitcnt vmcnt(6) lgkmcnt(3)
	v_mul_f64 v[0:1], v[38:39], v[102:103]
	v_fma_f64 v[120:121], v[36:37], v[100:101], -v[0:1]
	s_waitcnt vmcnt(4) lgkmcnt(2)
	v_mul_f64 v[0:1], v[42:43], v[98:99]
	v_fma_f64 v[122:123], v[40:41], v[96:97], -v[0:1]
	s_waitcnt lgkmcnt(1)
	v_mul_f64 v[0:1], v[46:47], v[94:95]
	v_fma_f64 v[126:127], v[44:45], v[92:93], -v[0:1]
	v_accvgpr_write_b32 a0, v92
	v_mul_f64 v[124:125], v[44:45], v[94:95]
	v_accvgpr_write_b32 a1, v93
	v_accvgpr_write_b32 a2, v94
	;; [unrolled: 1-line block ×3, first 2 shown]
	v_mul_f64 v[116:117], v[36:37], v[102:103]
	s_waitcnt vmcnt(3) lgkmcnt(0)
	v_mul_f64 v[0:1], v[50:51], v[106:107]
	v_fma_f64 v[94:95], v[48:49], v[104:105], -v[0:1]
	ds_read_b128 v[0:3], v196 offset:14960
	v_accvgpr_write_b32 a251, v103
	v_accvgpr_write_b32 a250, v102
	;; [unrolled: 1-line block ×4, first 2 shown]
	v_fmac_f64_e32 v[116:117], v[38:39], v[100:101]
	s_waitcnt vmcnt(2) lgkmcnt(0)
	v_mul_f64 v[4:5], v[2:3], v[210:211]
	v_mul_f64 v[100:101], v[0:1], v[210:211]
	v_fma_f64 v[102:103], v[0:1], v[208:209], -v[4:5]
	v_fmac_f64_e32 v[100:101], v[2:3], v[208:209]
	ds_read_b128 v[0:3], v196 offset:21120
	v_fmac_f64_e32 v[124:125], v[46:47], v[92:93]
	v_mul_f64 v[92:93], v[48:49], v[106:107]
	v_accvgpr_write_b32 a247, v107
	v_accvgpr_write_b32 a246, v106
	;; [unrolled: 1-line block ×4, first 2 shown]
	v_fmac_f64_e32 v[92:93], v[50:51], v[104:105]
	s_waitcnt vmcnt(1) lgkmcnt(0)
	v_mul_f64 v[4:5], v[2:3], v[214:215]
	v_mul_f64 v[104:105], v[0:1], v[214:215]
	v_fma_f64 v[106:107], v[0:1], v[212:213], -v[4:5]
	v_fmac_f64_e32 v[104:105], v[2:3], v[212:213]
	ds_read_b128 v[0:3], v196 offset:27280
	v_accvgpr_write_b32 a222, v72
	v_fmac_f64_e32 v[140:141], v[30:31], v[72:73]
	v_mul_f64 v[128:129], v[16:17], v[78:79]
	v_accvgpr_write_b32 a243, v79
	s_waitcnt vmcnt(0) lgkmcnt(0)
	v_mul_f64 v[4:5], v[2:3], v[200:201]
	v_fma_f64 v[110:111], v[0:1], v[198:199], -v[4:5]
	v_mul_f64 v[108:109], v[0:1], v[200:201]
	v_lshlrev_b32_e32 v0, 6, v180
	v_add_co_u32_e32 v6, vcc, s10, v0
	v_addc_co_u32_e32 v7, vcc, 0, v160, vcc
	v_add_co_u32_e32 v0, vcc, s24, v6
	v_addc_co_u32_e32 v1, vcc, 0, v7, vcc
	global_load_dwordx4 v[220:223], v[0:1], off offset:1952
	v_fmac_f64_e32 v[108:109], v[2:3], v[198:199]
	ds_read_b128 v[0:3], v196 offset:9680
	v_accvgpr_write_b32 a242, v78
	v_accvgpr_write_b32 a241, v77
	v_accvgpr_write_b32 a240, v76
	v_fmac_f64_e32 v[128:129], v[18:19], v[76:77]
	v_mul_f64 v[134:135], v[24:25], v[82:83]
	v_accvgpr_write_b32 a239, v83
	v_accvgpr_write_b32 a238, v82
	;; [unrolled: 1-line block ×4, first 2 shown]
	v_fmac_f64_e32 v[134:135], v[26:27], v[80:81]
	v_mul_f64 v[118:119], v[40:41], v[98:99]
	v_fmac_f64_e32 v[118:119], v[42:43], v[96:97]
	v_mul_f64 v[132:133], v[20:21], v[86:87]
	;; [unrolled: 2-line block ×3, first 2 shown]
	v_fmac_f64_e32 v[150:151], v[10:11], v[60:61]
	v_fmac_f64_e32 v[156:157], v[14:15], v[56:57]
	v_mul_f64 v[112:113], v[32:33], v[90:91]
	v_fmac_f64_e32 v[112:113], v[34:35], v[88:89]
	v_accvgpr_write_b32 a217, v59
	v_accvgpr_write_b32 a221, v67
	;; [unrolled: 1-line block ×12, first 2 shown]
	v_add_f64 v[52:53], v[144:145], -v[148:149]
	v_add_f64 v[54:55], v[156:157], -v[150:151]
	;; [unrolled: 1-line block ×4, first 2 shown]
	v_add_f64 v[58:59], v[52:53], v[54:55]
	v_add_f64 v[62:63], v[148:149], -v[150:151]
	v_add_f64 v[66:67], v[152:153], -v[154:155]
	v_accvgpr_write_b32 a235, v87
	v_accvgpr_write_b32 a234, v86
	;; [unrolled: 1-line block ×12, first 2 shown]
	s_waitcnt vmcnt(0) lgkmcnt(0)
	v_mul_f64 v[4:5], v[2:3], v[222:223]
	v_fma_f64 v[70:71], v[0:1], v[220:221], -v[4:5]
	v_add_co_u32_e32 v4, vcc, s11, v6
	v_addc_co_u32_e32 v5, vcc, 0, v7, vcc
	global_load_dwordx4 v[224:227], v[4:5], off offset:16
	global_load_dwordx4 v[232:235], v[4:5], off offset:32
	;; [unrolled: 1-line block ×3, first 2 shown]
	v_mul_f64 v[68:69], v[0:1], v[222:223]
	v_fmac_f64_e32 v[68:69], v[2:3], v[220:221]
	ds_read_b128 v[0:3], v196 offset:15840
	s_waitcnt vmcnt(2) lgkmcnt(0)
	v_mul_f64 v[6:7], v[2:3], v[226:227]
	v_mul_f64 v[72:73], v[0:1], v[226:227]
	v_fma_f64 v[74:75], v[0:1], v[224:225], -v[6:7]
	v_fmac_f64_e32 v[72:73], v[2:3], v[224:225]
	ds_read_b128 v[0:3], v196 offset:22000
	s_waitcnt vmcnt(1) lgkmcnt(0)
	v_mul_f64 v[6:7], v[2:3], v[234:235]
	v_mul_f64 v[76:77], v[0:1], v[234:235]
	v_fma_f64 v[78:79], v[0:1], v[232:233], -v[6:7]
	v_fmac_f64_e32 v[76:77], v[2:3], v[232:233]
	ds_read_b128 v[0:3], v196 offset:28160
	s_waitcnt vmcnt(0) lgkmcnt(0)
	v_mul_f64 v[4:5], v[2:3], v[230:231]
	v_fma_f64 v[82:83], v[0:1], v[228:229], -v[4:5]
	v_mul_f64 v[80:81], v[0:1], v[230:231]
	v_lshlrev_b32_e32 v0, 6, v161
	v_add_co_u32_e32 v6, vcc, s10, v0
	v_addc_co_u32_e32 v7, vcc, 0, v160, vcc
	v_add_co_u32_e32 v0, vcc, s24, v6
	v_addc_co_u32_e32 v1, vcc, 0, v7, vcc
	global_load_dwordx4 v[236:239], v[0:1], off offset:1952
	v_fmac_f64_e32 v[80:81], v[2:3], v[228:229]
	ds_read_b128 v[0:3], v196 offset:10560
	s_waitcnt vmcnt(0) lgkmcnt(0)
	v_mul_f64 v[4:5], v[2:3], v[238:239]
	v_fma_f64 v[38:39], v[0:1], v[236:237], -v[4:5]
	v_add_co_u32_e32 v4, vcc, s11, v6
	v_addc_co_u32_e32 v5, vcc, 0, v7, vcc
	global_load_dwordx4 v[244:247], v[4:5], off offset:16
	global_load_dwordx4 v[240:243], v[4:5], off offset:32
	;; [unrolled: 1-line block ×3, first 2 shown]
	v_mul_f64 v[36:37], v[0:1], v[238:239]
	v_fmac_f64_e32 v[36:37], v[2:3], v[236:237]
	ds_read_b128 v[0:3], v196 offset:16720
	s_waitcnt vmcnt(2) lgkmcnt(0)
	v_mul_f64 v[6:7], v[2:3], v[246:247]
	v_mul_f64 v[40:41], v[0:1], v[246:247]
	v_fma_f64 v[42:43], v[0:1], v[244:245], -v[6:7]
	v_fmac_f64_e32 v[40:41], v[2:3], v[244:245]
	ds_read_b128 v[0:3], v196 offset:22880
	s_waitcnt vmcnt(1) lgkmcnt(0)
	v_mul_f64 v[6:7], v[2:3], v[242:243]
	v_mul_f64 v[44:45], v[0:1], v[242:243]
	v_fma_f64 v[46:47], v[0:1], v[240:241], -v[6:7]
	v_fmac_f64_e32 v[44:45], v[2:3], v[240:241]
	ds_read_b128 v[0:3], v196 offset:29040
	s_waitcnt vmcnt(0) lgkmcnt(0)
	v_mul_f64 v[4:5], v[2:3], v[250:251]
	v_fma_f64 v[50:51], v[0:1], v[248:249], -v[4:5]
	v_mul_f64 v[48:49], v[0:1], v[250:251]
	v_lshlrev_b32_e32 v0, 6, v162
	v_add_co_u32_e32 v6, vcc, s10, v0
	v_addc_co_u32_e32 v7, vcc, 0, v160, vcc
	v_add_co_u32_e32 v0, vcc, s24, v6
	v_addc_co_u32_e32 v1, vcc, 0, v7, vcc
	global_load_dwordx4 v[252:255], v[0:1], off offset:1952
	v_fmac_f64_e32 v[48:49], v[2:3], v[248:249]
	ds_read_b128 v[0:3], v196 offset:11440
	v_add_co_u32_e32 v12, vcc, s11, v6
	v_addc_co_u32_e32 v13, vcc, 0, v7, vcc
	s_mov_b32 s10, 0x429ad128
	s_mov_b32 s11, 0xbfebfeb5
	s_waitcnt vmcnt(0) lgkmcnt(0)
	v_mul_f64 v[4:5], v[2:3], v[254:255]
	v_mul_f64 v[20:21], v[0:1], v[254:255]
	v_fma_f64 v[22:23], v[0:1], v[252:253], -v[4:5]
	v_fmac_f64_e32 v[20:21], v[2:3], v[252:253]
	global_load_dwordx4 v[0:3], v[12:13], off offset:16
	ds_read_b128 v[4:7], v196 offset:17600
	s_waitcnt vmcnt(0) lgkmcnt(0)
	v_mul_f64 v[8:9], v[6:7], v[2:3]
	v_mul_f64 v[24:25], v[4:5], v[2:3]
	v_fma_f64 v[26:27], v[4:5], v[0:1], -v[8:9]
	v_fmac_f64_e32 v[24:25], v[6:7], v[0:1]
	global_load_dwordx4 v[4:7], v[12:13], off offset:32
	ds_read_b128 v[8:11], v196 offset:23760
	;; [unrolled: 7-line block ×3, first 2 shown]
	s_waitcnt vmcnt(0) lgkmcnt(0)
	v_mul_f64 v[16:17], v[14:15], v[10:11]
	v_mul_f64 v[32:33], v[12:13], v[10:11]
	v_fma_f64 v[34:35], v[12:13], v[8:9], -v[16:17]
	v_fmac_f64_e32 v[32:33], v[14:15], v[8:9]
	ds_read_b128 v[12:15], v196
	s_waitcnt lgkmcnt(0)
	v_add_f64 v[16:17], v[12:13], v[146:147]
	v_add_f64 v[18:19], v[14:15], v[144:145]
	;; [unrolled: 1-line block ×8, first 2 shown]
	ds_write_b128 v196, v[16:19]
	v_add_f64 v[16:17], v[146:147], -v[152:153]
	v_add_f64 v[18:19], v[158:159], -v[154:155]
	v_add_f64 v[56:57], v[16:17], v[18:19]
	v_add_f64 v[16:17], v[152:153], v[154:155]
	v_add_f64 v[18:19], v[148:149], v[150:151]
	v_fma_f64 v[16:17], -0.5, v[16:17], v[12:13]
	v_fma_f64 v[18:19], -0.5, v[18:19], v[14:15]
	v_fma_f64 v[52:53], s[14:15], v[60:61], v[16:17]
	v_fma_f64 v[54:55], s[20:21], v[64:65], v[18:19]
	v_fmac_f64_e32 v[52:53], s[16:17], v[62:63]
	v_fmac_f64_e32 v[54:55], s[22:23], v[66:67]
	v_fmac_f64_e32 v[52:53], s[18:19], v[56:57]
	v_fmac_f64_e32 v[54:55], s[18:19], v[58:59]
	ds_write_b128 v196, v[52:55] offset:6160
	v_add_f64 v[52:53], v[146:147], v[158:159]
	v_fmac_f64_e32 v[12:13], -0.5, v[52:53]
	v_add_f64 v[52:53], v[152:153], -v[146:147]
	v_add_f64 v[54:55], v[154:155], -v[158:159]
	v_add_f64 v[84:85], v[52:53], v[54:55]
	v_add_f64 v[52:53], v[144:145], v[156:157]
	v_fmac_f64_e32 v[14:15], -0.5, v[52:53]
	v_add_f64 v[52:53], v[148:149], -v[144:145]
	v_add_f64 v[54:55], v[150:151], -v[156:157]
	v_add_f64 v[86:87], v[52:53], v[54:55]
	v_fma_f64 v[52:53], s[20:21], v[62:63], v[12:13]
	v_fma_f64 v[54:55], s[14:15], v[66:67], v[14:15]
	v_fmac_f64_e32 v[12:13], s[14:15], v[62:63]
	v_fmac_f64_e32 v[14:15], s[20:21], v[66:67]
	v_fmac_f64_e32 v[12:13], s[22:23], v[60:61]
	v_fmac_f64_e32 v[14:15], s[16:17], v[64:65]
	v_fmac_f64_e32 v[12:13], s[18:19], v[84:85]
	v_fmac_f64_e32 v[14:15], s[18:19], v[86:87]
	ds_write_b128 v196, v[12:15] offset:18480
	ds_read_b128 v[12:15], v196 offset:880
	v_fmac_f64_e32 v[16:17], s[20:21], v[60:61]
	v_fmac_f64_e32 v[18:19], s[14:15], v[64:65]
	v_fmac_f64_e32 v[16:17], s[22:23], v[62:63]
	v_fmac_f64_e32 v[18:19], s[16:17], v[66:67]
	v_fmac_f64_e32 v[16:17], s[18:19], v[56:57]
	v_fmac_f64_e32 v[18:19], s[18:19], v[58:59]
	ds_write_b128 v196, v[16:19] offset:24640
	s_waitcnt lgkmcnt(1)
	v_add_f64 v[16:17], v[12:13], v[130:131]
	v_add_f64 v[18:19], v[14:15], v[128:129]
	v_add_f64 v[16:17], v[16:17], v[136:137]
	v_add_f64 v[18:19], v[18:19], v[132:133]
	v_add_f64 v[16:17], v[16:17], v[138:139]
	v_add_f64 v[18:19], v[18:19], v[134:135]
	v_add_f64 v[16:17], v[16:17], v[142:143]
	v_add_f64 v[18:19], v[18:19], v[140:141]
	v_fmac_f64_e32 v[52:53], s[16:17], v[60:61]
	v_fmac_f64_e32 v[54:55], s[22:23], v[64:65]
	ds_write_b128 v196, v[16:19] offset:880
	v_add_f64 v[16:17], v[130:131], -v[136:137]
	v_add_f64 v[18:19], v[142:143], -v[138:139]
	v_fmac_f64_e32 v[52:53], s[18:19], v[84:85]
	v_fmac_f64_e32 v[54:55], s[18:19], v[86:87]
	v_add_f64 v[56:57], v[16:17], v[18:19]
	v_add_f64 v[16:17], v[136:137], v[138:139]
	v_add_f64 v[18:19], v[132:133], v[134:135]
	ds_write_b128 v196, v[52:55] offset:12320
	v_fma_f64 v[16:17], -0.5, v[16:17], v[12:13]
	v_fma_f64 v[18:19], -0.5, v[18:19], v[14:15]
	v_add_f64 v[52:53], v[128:129], -v[132:133]
	v_add_f64 v[54:55], v[140:141], -v[134:135]
	v_add_f64 v[60:61], v[128:129], -v[140:141]
	v_add_f64 v[64:65], v[130:131], -v[142:143]
	v_add_f64 v[58:59], v[52:53], v[54:55]
	v_add_f64 v[62:63], v[132:133], -v[134:135]
	v_fma_f64 v[52:53], s[14:15], v[60:61], v[16:17]
	v_fma_f64 v[54:55], s[20:21], v[64:65], v[18:19]
	v_add_f64 v[66:67], v[136:137], -v[138:139]
	v_fmac_f64_e32 v[52:53], s[16:17], v[62:63]
	v_fmac_f64_e32 v[54:55], s[22:23], v[66:67]
	v_fmac_f64_e32 v[52:53], s[18:19], v[56:57]
	v_fmac_f64_e32 v[54:55], s[18:19], v[58:59]
	ds_write_b128 v196, v[52:55] offset:7040
	v_add_f64 v[52:53], v[130:131], v[142:143]
	v_fmac_f64_e32 v[12:13], -0.5, v[52:53]
	v_add_f64 v[52:53], v[136:137], -v[130:131]
	v_add_f64 v[54:55], v[138:139], -v[142:143]
	v_add_f64 v[84:85], v[52:53], v[54:55]
	v_add_f64 v[52:53], v[128:129], v[140:141]
	v_fmac_f64_e32 v[14:15], -0.5, v[52:53]
	v_add_f64 v[52:53], v[132:133], -v[128:129]
	v_add_f64 v[54:55], v[134:135], -v[140:141]
	v_add_f64 v[86:87], v[52:53], v[54:55]
	v_fma_f64 v[52:53], s[20:21], v[62:63], v[12:13]
	v_fma_f64 v[54:55], s[14:15], v[66:67], v[14:15]
	v_fmac_f64_e32 v[12:13], s[14:15], v[62:63]
	v_fmac_f64_e32 v[14:15], s[20:21], v[66:67]
	v_fmac_f64_e32 v[12:13], s[22:23], v[60:61]
	v_fmac_f64_e32 v[14:15], s[16:17], v[64:65]
	v_fmac_f64_e32 v[12:13], s[18:19], v[84:85]
	v_fmac_f64_e32 v[14:15], s[18:19], v[86:87]
	ds_write_b128 v196, v[12:15] offset:19360
	ds_read_b128 v[12:15], v196 offset:1760
	v_fmac_f64_e32 v[16:17], s[20:21], v[60:61]
	v_fmac_f64_e32 v[18:19], s[14:15], v[64:65]
	v_fmac_f64_e32 v[16:17], s[22:23], v[62:63]
	v_fmac_f64_e32 v[18:19], s[16:17], v[66:67]
	v_fmac_f64_e32 v[16:17], s[18:19], v[56:57]
	v_fmac_f64_e32 v[18:19], s[18:19], v[58:59]
	ds_write_b128 v196, v[16:19] offset:25520
	s_waitcnt lgkmcnt(1)
	v_add_f64 v[16:17], v[12:13], v[114:115]
	v_add_f64 v[18:19], v[14:15], v[112:113]
	v_add_f64 v[16:17], v[16:17], v[120:121]
	v_add_f64 v[18:19], v[18:19], v[116:117]
	v_add_f64 v[16:17], v[16:17], v[122:123]
	v_add_f64 v[18:19], v[18:19], v[118:119]
	v_add_f64 v[16:17], v[16:17], v[126:127]
	v_add_f64 v[18:19], v[18:19], v[124:125]
	v_fmac_f64_e32 v[52:53], s[16:17], v[60:61]
	v_fmac_f64_e32 v[54:55], s[22:23], v[64:65]
	ds_write_b128 v196, v[16:19] offset:1760
	v_add_f64 v[16:17], v[114:115], -v[120:121]
	v_add_f64 v[18:19], v[126:127], -v[122:123]
	v_fmac_f64_e32 v[52:53], s[18:19], v[84:85]
	v_fmac_f64_e32 v[54:55], s[18:19], v[86:87]
	v_add_f64 v[56:57], v[16:17], v[18:19]
	v_add_f64 v[16:17], v[120:121], v[122:123]
	v_add_f64 v[18:19], v[116:117], v[118:119]
	ds_write_b128 v196, v[52:55] offset:13200
	v_fma_f64 v[16:17], -0.5, v[16:17], v[12:13]
	v_fma_f64 v[18:19], -0.5, v[18:19], v[14:15]
	v_add_f64 v[52:53], v[112:113], -v[116:117]
	v_add_f64 v[54:55], v[124:125], -v[118:119]
	v_add_f64 v[60:61], v[112:113], -v[124:125]
	v_add_f64 v[64:65], v[114:115], -v[126:127]
	v_add_f64 v[58:59], v[52:53], v[54:55]
	v_add_f64 v[62:63], v[116:117], -v[118:119]
	v_fma_f64 v[52:53], s[14:15], v[60:61], v[16:17]
	v_fma_f64 v[54:55], s[20:21], v[64:65], v[18:19]
	v_add_f64 v[66:67], v[120:121], -v[122:123]
	;; [unrolled: 63-line block ×5, first 2 shown]
	v_fmac_f64_e32 v[52:53], s[16:17], v[62:63]
	v_fmac_f64_e32 v[54:55], s[22:23], v[66:67]
	;; [unrolled: 1-line block ×4, first 2 shown]
	ds_write_b128 v196, v[52:55] offset:10560
	v_add_f64 v[52:53], v[38:39], v[50:51]
	v_add_f64 v[38:39], v[42:43], -v[38:39]
	v_add_f64 v[42:43], v[46:47], -v[50:51]
	v_add_f64 v[42:43], v[38:39], v[42:43]
	v_add_f64 v[38:39], v[36:37], v[48:49]
	v_fmac_f64_e32 v[12:13], -0.5, v[52:53]
	v_fmac_f64_e32 v[14:15], -0.5, v[38:39]
	v_add_f64 v[36:37], v[40:41], -v[36:37]
	v_add_f64 v[38:39], v[44:45], -v[48:49]
	v_add_f64 v[40:41], v[36:37], v[38:39]
	v_fma_f64 v[36:37], s[20:21], v[62:63], v[12:13]
	v_fma_f64 v[38:39], s[14:15], v[66:67], v[14:15]
	v_fmac_f64_e32 v[12:13], s[14:15], v[62:63]
	v_fmac_f64_e32 v[14:15], s[20:21], v[66:67]
	v_fmac_f64_e32 v[12:13], s[22:23], v[60:61]
	v_fmac_f64_e32 v[14:15], s[16:17], v[64:65]
	v_fmac_f64_e32 v[12:13], s[18:19], v[42:43]
	v_fmac_f64_e32 v[14:15], s[18:19], v[40:41]
	ds_write_b128 v196, v[12:15] offset:22880
	ds_read_b128 v[12:15], v196 offset:5280
	v_fmac_f64_e32 v[16:17], s[20:21], v[60:61]
	v_fmac_f64_e32 v[18:19], s[14:15], v[64:65]
	;; [unrolled: 1-line block ×6, first 2 shown]
	ds_write_b128 v196, v[16:19] offset:29040
	s_waitcnt lgkmcnt(1)
	v_add_f64 v[16:17], v[12:13], v[22:23]
	v_add_f64 v[18:19], v[14:15], v[20:21]
	;; [unrolled: 1-line block ×8, first 2 shown]
	v_fmac_f64_e32 v[36:37], s[16:17], v[60:61]
	v_fmac_f64_e32 v[38:39], s[22:23], v[64:65]
	ds_write_b128 v196, v[16:19] offset:5280
	v_add_f64 v[16:17], v[22:23], -v[26:27]
	v_add_f64 v[18:19], v[34:35], -v[30:31]
	v_fmac_f64_e32 v[36:37], s[18:19], v[42:43]
	v_fmac_f64_e32 v[38:39], s[18:19], v[40:41]
	v_add_f64 v[40:41], v[16:17], v[18:19]
	v_add_f64 v[16:17], v[26:27], v[30:31]
	;; [unrolled: 1-line block ×3, first 2 shown]
	ds_write_b128 v196, v[36:39] offset:16720
	v_fma_f64 v[16:17], -0.5, v[16:17], v[12:13]
	v_fma_f64 v[18:19], -0.5, v[18:19], v[14:15]
	v_add_f64 v[36:37], v[20:21], -v[24:25]
	v_add_f64 v[38:39], v[32:33], -v[28:29]
	;; [unrolled: 1-line block ×4, first 2 shown]
	v_add_f64 v[42:43], v[36:37], v[38:39]
	v_add_f64 v[46:47], v[24:25], -v[28:29]
	v_fma_f64 v[36:37], s[14:15], v[44:45], v[16:17]
	v_fma_f64 v[38:39], s[20:21], v[48:49], v[18:19]
	v_add_f64 v[50:51], v[26:27], -v[30:31]
	v_fmac_f64_e32 v[36:37], s[16:17], v[46:47]
	v_fmac_f64_e32 v[38:39], s[22:23], v[50:51]
	;; [unrolled: 1-line block ×4, first 2 shown]
	ds_write_b128 v196, v[36:39] offset:11440
	v_add_f64 v[36:37], v[22:23], v[34:35]
	v_add_f64 v[22:23], v[26:27], -v[22:23]
	v_add_f64 v[26:27], v[30:31], -v[34:35]
	v_add_f64 v[26:27], v[22:23], v[26:27]
	v_add_f64 v[22:23], v[20:21], v[32:33]
	v_fmac_f64_e32 v[12:13], -0.5, v[36:37]
	v_fmac_f64_e32 v[14:15], -0.5, v[22:23]
	v_add_f64 v[20:21], v[24:25], -v[20:21]
	v_add_f64 v[22:23], v[28:29], -v[32:33]
	v_add_f64 v[24:25], v[20:21], v[22:23]
	v_fma_f64 v[20:21], s[20:21], v[46:47], v[12:13]
	v_fma_f64 v[22:23], s[14:15], v[50:51], v[14:15]
	v_fmac_f64_e32 v[12:13], s[14:15], v[46:47]
	v_fmac_f64_e32 v[14:15], s[20:21], v[50:51]
	;; [unrolled: 1-line block ×6, first 2 shown]
	ds_write_b128 v196, v[12:15] offset:23760
	v_lshlrev_b32_e32 v12, 4, v174
	v_add_co_u32_e32 v58, vcc, s8, v12
	v_mov_b32_e32 v12, s9
	v_fmac_f64_e32 v[16:17], s[20:21], v[44:45]
	v_fmac_f64_e32 v[18:19], s[14:15], v[48:49]
	v_addc_co_u32_e32 v59, vcc, 0, v12, vcc
	v_fmac_f64_e32 v[20:21], s[16:17], v[44:45]
	v_fmac_f64_e32 v[22:23], s[22:23], v[48:49]
	;; [unrolled: 1-line block ×4, first 2 shown]
	v_add_co_u32_e32 v12, vcc, s2, v58
	v_fmac_f64_e32 v[20:21], s[18:19], v[26:27]
	v_fmac_f64_e32 v[22:23], s[18:19], v[24:25]
	;; [unrolled: 1-line block ×4, first 2 shown]
	v_addc_co_u32_e32 v13, vcc, 0, v59, vcc
	ds_write_b128 v196, v[20:23] offset:17600
	ds_write_b128 v196, v[16:19] offset:29920
	s_waitcnt lgkmcnt(0)
	; wave barrier
	s_waitcnt lgkmcnt(0)
	global_load_dwordx4 v[16:19], v[12:13], off offset:2128
	ds_read_b128 v[20:23], v196
	ds_read_b128 v[54:57], v196 offset:880
	s_mov_b32 s2, 0x8000
	v_add_co_u32_e32 v46, vcc, s2, v58
	v_addc_co_u32_e32 v47, vcc, 0, v59, vcc
	ds_read_b128 v[24:27], v196 offset:4400
	ds_read_b128 v[28:31], v196 offset:8800
	s_mov_b32 s2, 0x9000
	v_add_co_u32_e32 v48, vcc, s2, v58
	v_addc_co_u32_e32 v49, vcc, 0, v59, vcc
	s_mov_b32 s2, 0xa000
	v_add_co_u32_e32 v160, vcc, s2, v58
	v_addc_co_u32_e32 v161, vcc, 0, v59, vcc
	ds_read_b128 v[32:35], v196 offset:13200
	ds_read_b128 v[36:39], v196 offset:17600
	s_mov_b32 s2, 0xb000
	v_add_co_u32_e32 v164, vcc, s2, v58
	v_addc_co_u32_e32 v165, vcc, 0, v59, vcc
	;; [unrolled: 8-line block ×3, first 2 shown]
	s_movk_i32 s2, 0x7850
	v_add_co_u32_e32 v44, vcc, s2, v58
	v_addc_co_u32_e32 v45, vcc, 0, v59, vcc
	s_mov_b32 s2, 0xe000
	v_add_co_u32_e32 v174, vcc, s2, v58
	v_addc_co_u32_e32 v175, vcc, 0, v59, vcc
	s_mov_b32 s16, 0xaaaaaaaa
	s_mov_b32 s17, 0xbff2aaaa
	;; [unrolled: 1-line block ×16, first 2 shown]
	s_waitcnt vmcnt(0) lgkmcnt(7)
	v_mul_f64 v[12:13], v[22:23], v[18:19]
	v_mul_f64 v[14:15], v[20:21], v[18:19]
	v_fma_f64 v[12:13], v[20:21], v[16:17], -v[12:13]
	v_fmac_f64_e32 v[14:15], v[22:23], v[16:17]
	global_load_dwordx4 v[20:23], v[46:47], off offset:2432
	s_waitcnt vmcnt(0) lgkmcnt(5)
	v_mul_f64 v[16:17], v[26:27], v[22:23]
	v_mul_f64 v[18:19], v[24:25], v[22:23]
	v_fma_f64 v[16:17], v[24:25], v[20:21], -v[16:17]
	v_fmac_f64_e32 v[18:19], v[26:27], v[20:21]
	global_load_dwordx4 v[24:27], v[48:49], off offset:2736
	;; [unrolled: 6-line block ×7, first 2 shown]
	s_waitcnt vmcnt(0)
	v_mul_f64 v[40:41], v[56:57], v[52:53]
	v_mul_f64 v[42:43], v[54:55], v[52:53]
	v_fma_f64 v[40:41], v[54:55], v[50:51], -v[40:41]
	v_fmac_f64_e32 v[42:43], v[56:57], v[50:51]
	global_load_dwordx4 v[50:53], v[46:47], off offset:3312
	ds_read_b128 v[54:57], v196 offset:5280
	s_waitcnt vmcnt(0) lgkmcnt(0)
	v_mul_f64 v[46:47], v[56:57], v[52:53]
	v_mul_f64 v[70:71], v[54:55], v[52:53]
	v_fma_f64 v[68:69], v[54:55], v[50:51], -v[46:47]
	v_fmac_f64_e32 v[70:71], v[56:57], v[50:51]
	global_load_dwordx4 v[50:53], v[48:49], off offset:3616
	ds_read_b128 v[54:57], v196 offset:9680
	s_waitcnt vmcnt(0) lgkmcnt(0)
	;; [unrolled: 7-line block ×21, first 2 shown]
	v_mul_f64 v[44:45], v[56:57], v[52:53]
	v_fma_f64 v[44:45], v[54:55], v[50:51], -v[44:45]
	v_mul_f64 v[46:47], v[54:55], v[52:53]
	global_load_dwordx4 v[52:55], v[48:49], off offset:1856
	v_fmac_f64_e32 v[46:47], v[56:57], v[50:51]
	ds_read_b128 v[56:59], v196 offset:7920
	s_waitcnt vmcnt(0) lgkmcnt(0)
	v_mul_f64 v[48:49], v[58:59], v[54:55]
	v_mul_f64 v[50:51], v[56:57], v[54:55]
	v_fma_f64 v[48:49], v[56:57], v[52:53], -v[48:49]
	v_fmac_f64_e32 v[50:51], v[58:59], v[52:53]
	global_load_dwordx4 v[52:55], v[160:161], off offset:2160
	ds_read_b128 v[56:59], v196 offset:12320
	s_waitcnt vmcnt(0) lgkmcnt(0)
	v_mul_f64 v[60:61], v[58:59], v[54:55]
	v_mul_f64 v[162:163], v[56:57], v[54:55]
	v_fma_f64 v[160:161], v[56:57], v[52:53], -v[60:61]
	v_fmac_f64_e32 v[162:163], v[58:59], v[52:53]
	global_load_dwordx4 v[52:55], v[164:165], off offset:2464
	;; [unrolled: 7-line block ×5, first 2 shown]
	ds_read_b128 v[56:59], v196 offset:29920
	s_waitcnt vmcnt(0) lgkmcnt(0)
	v_mul_f64 v[64:65], v[58:59], v[54:55]
	v_mul_f64 v[66:67], v[56:57], v[54:55]
	v_fma_f64 v[64:65], v[56:57], v[52:53], -v[64:65]
	v_fmac_f64_e32 v[66:67], v[58:59], v[52:53]
	ds_write_b128 v196, v[12:15]
	ds_write_b128 v196, v[16:19] offset:4400
	ds_write_b128 v196, v[20:23] offset:8800
	ds_write_b128 v196, v[24:27] offset:13200
	ds_write_b128 v196, v[28:31] offset:17600
	ds_write_b128 v196, v[32:35] offset:22000
	ds_write_b128 v196, v[36:39] offset:26400
	ds_write_b128 v196, v[40:43] offset:880
	ds_write_b128 v196, v[68:71] offset:5280
	ds_write_b128 v196, v[72:75] offset:9680
	ds_write_b128 v196, v[76:79] offset:14080
	ds_write_b128 v196, v[80:83] offset:18480
	ds_write_b128 v196, v[92:95] offset:22880
	ds_write_b128 v196, v[100:103] offset:27280
	ds_write_b128 v196, v[104:107] offset:1760
	ds_write_b128 v196, v[108:111] offset:6160
	ds_write_b128 v196, v[112:115] offset:10560
	ds_write_b128 v196, v[116:119] offset:14960
	ds_write_b128 v196, v[120:123] offset:19360
	ds_write_b128 v196, v[124:127] offset:23760
	ds_write_b128 v196, v[128:131] offset:28160
	ds_write_b128 v196, v[132:135] offset:2640
	ds_write_b128 v196, v[136:139] offset:7040
	ds_write_b128 v196, v[140:143] offset:11440
	ds_write_b128 v196, v[144:147] offset:15840
	ds_write_b128 v196, v[148:151] offset:20240
	ds_write_b128 v196, v[152:155] offset:24640
	ds_write_b128 v196, v[156:159] offset:29040
	ds_write_b128 v196, v[44:47] offset:3520
	ds_write_b128 v196, v[48:51] offset:7920
	ds_write_b128 v196, v[160:163] offset:12320
	ds_write_b128 v196, v[164:167] offset:16720
	ds_write_b128 v196, v[168:171] offset:21120
	ds_write_b128 v196, v[60:63] offset:25520
	ds_write_b128 v196, v[64:67] offset:29920
	s_waitcnt lgkmcnt(0)
	; wave barrier
	s_waitcnt lgkmcnt(0)
	ds_read_b128 v[12:15], v196 offset:4400
	ds_read_b128 v[16:19], v196 offset:26400
	s_waitcnt lgkmcnt(0)
	v_add_f64 v[20:21], v[12:13], v[16:17]
	v_add_f64 v[22:23], v[14:15], v[18:19]
	v_add_f64 v[12:13], v[12:13], -v[16:17]
	v_add_f64 v[14:15], v[14:15], -v[18:19]
	ds_read_b128 v[16:19], v196 offset:8800
	ds_read_b128 v[24:27], v196 offset:22000
	s_waitcnt lgkmcnt(0)
	v_add_f64 v[34:35], v[16:17], v[24:25]
	v_add_f64 v[32:33], v[18:19], v[26:27]
	v_add_f64 v[30:31], v[16:17], -v[24:25]
	v_add_f64 v[28:29], v[18:19], -v[26:27]
	ds_read_b128 v[24:27], v196 offset:13200
	ds_read_b128 v[36:39], v196 offset:17600
	v_add_f64 v[48:49], v[32:33], -v[22:23]
	v_add_f64 v[50:51], v[30:31], -v[12:13]
	;; [unrolled: 1-line block ×3, first 2 shown]
	s_waitcnt lgkmcnt(0)
	v_add_f64 v[16:17], v[24:25], v[36:37]
	v_add_f64 v[18:19], v[26:27], v[38:39]
	v_add_f64 v[36:37], v[36:37], -v[24:25]
	v_add_f64 v[38:39], v[38:39], -v[26:27]
	ds_read_b128 v[24:27], v196 offset:5280
	ds_read_b128 v[40:43], v196 offset:27280
	v_add_f64 v[46:47], v[16:17], -v[34:35]
	v_add_f64 v[52:53], v[18:19], -v[32:33]
	;; [unrolled: 1-line block ×3, first 2 shown]
	v_mul_f64 v[54:55], v[54:55], s[18:19]
	s_waitcnt lgkmcnt(0)
	v_add_f64 v[72:73], v[24:25], v[40:41]
	v_add_f64 v[74:75], v[26:27], v[42:43]
	v_add_f64 v[76:77], v[24:25], -v[40:41]
	v_add_f64 v[78:79], v[26:27], -v[42:43]
	ds_read_b128 v[24:27], v196 offset:9680
	ds_read_b128 v[40:43], v196 offset:22880
	v_fma_f64 v[66:67], v[56:57], s[10:11], -v[54:55]
	s_waitcnt lgkmcnt(0)
	v_add_f64 v[114:115], v[24:25], v[40:41]
	v_add_f64 v[112:113], v[26:27], v[42:43]
	v_add_f64 v[110:111], v[24:25], -v[40:41]
	v_add_f64 v[108:109], v[26:27], -v[42:43]
	ds_read_b128 v[24:27], v196 offset:14080
	ds_read_b128 v[40:43], v196 offset:18480
	s_waitcnt lgkmcnt(0)
	v_add_f64 v[80:81], v[24:25], v[40:41]
	v_add_f64 v[82:83], v[26:27], v[42:43]
	v_add_f64 v[92:93], v[40:41], -v[24:25]
	v_add_f64 v[94:95], v[42:43], -v[26:27]
	ds_read_b128 v[24:27], v196 offset:6160
	ds_read_b128 v[40:43], v196 offset:28160
	s_waitcnt lgkmcnt(0)
	v_add_f64 v[100:101], v[24:25], v[40:41]
	v_add_f64 v[102:103], v[26:27], v[42:43]
	v_add_f64 v[104:105], v[24:25], -v[40:41]
	v_add_f64 v[106:107], v[26:27], -v[42:43]
	ds_read_b128 v[24:27], v196 offset:10560
	ds_read_b128 v[40:43], v196 offset:23760
	s_waitcnt lgkmcnt(0)
	v_add_f64 v[138:139], v[24:25], v[40:41]
	v_add_f64 v[136:137], v[26:27], v[42:43]
	v_add_f64 v[134:135], v[24:25], -v[40:41]
	v_add_f64 v[132:133], v[26:27], -v[42:43]
	ds_read_b128 v[24:27], v196 offset:14960
	ds_read_b128 v[40:43], v196 offset:19360
	s_waitcnt lgkmcnt(0)
	v_add_f64 v[116:117], v[24:25], v[40:41]
	v_add_f64 v[118:119], v[26:27], v[42:43]
	v_add_f64 v[120:121], v[40:41], -v[24:25]
	v_add_f64 v[122:123], v[42:43], -v[26:27]
	ds_read_b128 v[24:27], v196 offset:7040
	ds_read_b128 v[40:43], v196 offset:29040
	s_waitcnt lgkmcnt(0)
	v_add_f64 v[124:125], v[24:25], v[40:41]
	v_add_f64 v[126:127], v[26:27], v[42:43]
	v_add_f64 v[128:129], v[24:25], -v[40:41]
	v_add_f64 v[130:131], v[26:27], -v[42:43]
	ds_read_b128 v[24:27], v196 offset:11440
	ds_read_b128 v[40:43], v196 offset:24640
	s_waitcnt lgkmcnt(0)
	v_add_f64 v[162:163], v[24:25], v[40:41]
	v_add_f64 v[160:161], v[26:27], v[42:43]
	v_add_f64 v[158:159], v[24:25], -v[40:41]
	v_add_f64 v[156:157], v[26:27], -v[42:43]
	ds_read_b128 v[24:27], v196 offset:15840
	ds_read_b128 v[40:43], v196 offset:20240
	s_waitcnt lgkmcnt(0)
	v_add_f64 v[140:141], v[24:25], v[40:41]
	v_add_f64 v[142:143], v[26:27], v[42:43]
	v_add_f64 v[144:145], v[40:41], -v[24:25]
	v_add_f64 v[146:147], v[42:43], -v[26:27]
	ds_read_b128 v[24:27], v196 offset:7920
	ds_read_b128 v[40:43], v196 offset:29920
	s_waitcnt lgkmcnt(0)
	v_add_f64 v[148:149], v[24:25], v[40:41]
	v_add_f64 v[150:151], v[26:27], v[42:43]
	v_add_f64 v[152:153], v[24:25], -v[40:41]
	v_add_f64 v[154:155], v[26:27], -v[42:43]
	ds_read_b128 v[24:27], v196 offset:12320
	ds_read_b128 v[40:43], v196 offset:25520
	s_waitcnt lgkmcnt(0)
	v_add_f64 v[178:179], v[24:25], v[40:41]
	v_add_f64 v[176:177], v[26:27], v[42:43]
	v_add_f64 v[174:175], v[24:25], -v[40:41]
	v_add_f64 v[172:173], v[26:27], -v[42:43]
	ds_read_b128 v[24:27], v196 offset:16720
	ds_read_b128 v[40:43], v196 offset:21120
	s_waitcnt lgkmcnt(0)
	v_add_f64 v[164:165], v[24:25], v[40:41]
	v_add_f64 v[168:169], v[40:41], -v[24:25]
	v_add_f64 v[24:25], v[34:35], v[20:21]
	v_add_f64 v[40:41], v[16:17], v[24:25]
	;; [unrolled: 1-line block ×4, first 2 shown]
	v_add_f64 v[170:171], v[42:43], -v[26:27]
	v_add_f64 v[42:43], v[18:19], v[24:25]
	ds_read_b128 v[24:27], v196
	v_add_f64 v[32:33], v[36:37], v[30:31]
	v_add_f64 v[16:17], v[20:21], -v[16:17]
	v_add_f64 v[18:19], v[22:23], -v[18:19]
	v_add_f64 v[58:59], v[32:33], v[12:13]
	s_waitcnt lgkmcnt(0)
	v_add_f64 v[24:25], v[24:25], v[40:41]
	v_add_f64 v[26:27], v[26:27], v[42:43]
	v_pk_mov_b32 v[44:45], v[24:25], v[24:25] op_sel:[0,1]
	v_fmac_f64_e32 v[44:45], s[16:17], v[40:41]
	v_pk_mov_b32 v[40:41], v[26:27], v[26:27] op_sel:[0,1]
	v_fmac_f64_e32 v[40:41], s[16:17], v[42:43]
	v_add_f64 v[42:43], v[34:35], -v[20:21]
	v_add_f64 v[34:35], v[36:37], -v[30:31]
	v_add_f64 v[30:31], v[38:39], v[28:29]
	v_add_f64 v[60:61], v[30:31], v[14:15]
	v_mul_f64 v[62:63], v[34:35], s[18:19]
	v_add_f64 v[12:13], v[12:13], -v[36:37]
	v_add_f64 v[14:15], v[14:15], -v[38:39]
	v_mul_f64 v[16:17], v[16:17], s[22:23]
	v_mul_f64 v[18:19], v[18:19], s[22:23]
	;; [unrolled: 1-line block ×6, first 2 shown]
	v_fma_f64 v[64:65], v[50:51], s[10:11], -v[62:63]
	v_fma_f64 v[36:37], v[42:43], s[24:25], -v[16:17]
	;; [unrolled: 1-line block ×5, first 2 shown]
	v_fmac_f64_e32 v[16:17], s[2:3], v[46:47]
	v_fmac_f64_e32 v[18:19], s[2:3], v[52:53]
	;; [unrolled: 1-line block ×4, first 2 shown]
	v_fma_f64 v[28:29], v[42:43], s[20:21], -v[28:29]
	v_fma_f64 v[30:31], v[48:49], s[20:21], -v[30:31]
	v_add_f64 v[36:37], v[36:37], v[44:45]
	v_add_f64 v[38:39], v[38:39], v[40:41]
	v_fmac_f64_e32 v[20:21], s[8:9], v[58:59]
	v_fmac_f64_e32 v[22:23], s[8:9], v[60:61]
	v_add_f64 v[12:13], v[16:17], v[44:45]
	v_add_f64 v[14:15], v[18:19], v[40:41]
	v_fmac_f64_e32 v[62:63], s[8:9], v[58:59]
	v_fmac_f64_e32 v[54:55], s[8:9], v[60:61]
	v_add_f64 v[28:29], v[28:29], v[44:45]
	v_add_f64 v[30:31], v[30:31], v[40:41]
	;; [unrolled: 1-line block ×3, first 2 shown]
	v_add_f64 v[50:51], v[38:39], -v[20:21]
	v_add_f64 v[36:37], v[36:37], -v[22:23]
	v_add_f64 v[38:39], v[20:21], v[38:39]
	v_add_f64 v[68:69], v[12:13], v[54:55]
	v_add_f64 v[70:71], v[14:15], -v[62:63]
	v_add_f64 v[44:45], v[12:13], -v[54:55]
	v_add_f64 v[46:47], v[62:63], v[14:15]
	ds_read_b128 v[40:43], v196 offset:880
	ds_read_b128 v[20:23], v196 offset:1760
	;; [unrolled: 1-line block ×4, first 2 shown]
	s_waitcnt lgkmcnt(0)
	; wave barrier
	s_waitcnt lgkmcnt(0)
	buffer_load_dword v52, off, s[44:47], 0 offset:856 ; 4-byte Folded Reload
	v_fmac_f64_e32 v[64:65], s[8:9], v[58:59]
	v_fmac_f64_e32 v[66:67], s[8:9], v[60:61]
	v_add_f64 v[32:33], v[28:29], -v[66:67]
	v_add_f64 v[34:35], v[64:65], v[30:31]
	v_add_f64 v[28:29], v[28:29], v[66:67]
	v_add_f64 v[30:31], v[30:31], -v[64:65]
	s_waitcnt vmcnt(0)
	ds_write_b128 v52, v[24:27]
	ds_write_b128 v52, v[68:71] offset:16
	ds_write_b128 v52, v[48:51] offset:32
	;; [unrolled: 1-line block ×6, first 2 shown]
	v_add_f64 v[24:25], v[114:115], v[72:73]
	v_add_f64 v[28:29], v[80:81], v[24:25]
	;; [unrolled: 1-line block ×5, first 2 shown]
	v_pk_mov_b32 v[46:47], v[26:27], v[26:27] op_sel:[0,1]
	v_add_f64 v[24:25], v[40:41], v[28:29]
	v_fmac_f64_e32 v[46:47], s[16:17], v[30:31]
	v_add_f64 v[30:31], v[92:93], -v[110:111]
	v_pk_mov_b32 v[44:45], v[24:25], v[24:25] op_sel:[0,1]
	v_add_f64 v[40:41], v[110:111], -v[76:77]
	v_mul_f64 v[56:57], v[30:31], s[18:19]
	v_fmac_f64_e32 v[44:45], s[16:17], v[28:29]
	v_add_f64 v[28:29], v[92:93], v[110:111]
	v_fma_f64 v[60:61], v[40:41], s[10:11], -v[56:57]
	v_add_f64 v[64:65], v[76:77], -v[92:93]
	v_mul_f64 v[40:41], v[40:41], s[10:11]
	v_add_f64 v[52:53], v[28:29], v[76:77]
	v_fma_f64 v[68:69], v[64:65], s[26:27], -v[40:41]
	v_fmac_f64_e32 v[56:57], s[14:15], v[64:65]
	v_fmac_f64_e32 v[60:61], s[8:9], v[52:53]
	;; [unrolled: 1-line block ×4, first 2 shown]
	buffer_load_dword v52, off, s[44:47], 0 offset:788 ; 4-byte Folded Reload
	v_add_f64 v[48:49], v[80:81], -v[114:115]
	v_add_f64 v[50:51], v[82:83], -v[112:113]
	;; [unrolled: 1-line block ×5, first 2 shown]
	v_add_f64 v[32:33], v[94:95], v[108:109]
	v_add_f64 v[42:43], v[108:109], -v[78:79]
	v_mul_f64 v[58:59], v[34:35], s[18:19]
	v_mul_f64 v[28:29], v[48:49], s[2:3]
	;; [unrolled: 1-line block ×3, first 2 shown]
	v_add_f64 v[54:55], v[32:33], v[78:79]
	v_fma_f64 v[28:29], v[36:37], s[20:21], -v[28:29]
	v_fma_f64 v[30:31], v[38:39], s[20:21], -v[30:31]
	;; [unrolled: 1-line block ×3, first 2 shown]
	v_add_f64 v[32:33], v[28:29], v[44:45]
	v_add_f64 v[34:35], v[30:31], v[46:47]
	v_fmac_f64_e32 v[62:63], s[8:9], v[54:55]
	v_add_f64 v[28:29], v[32:33], -v[62:63]
	v_add_f64 v[30:31], v[60:61], v[34:35]
	v_add_f64 v[32:33], v[32:33], v[62:63]
	v_add_f64 v[34:35], v[34:35], -v[60:61]
	v_add_f64 v[60:61], v[72:73], -v[80:81]
	;; [unrolled: 1-line block ×4, first 2 shown]
	v_mul_f64 v[60:61], v[60:61], s[22:23]
	v_mul_f64 v[62:63], v[62:63], s[22:23]
	;; [unrolled: 1-line block ×3, first 2 shown]
	v_fma_f64 v[36:37], v[36:37], s[24:25], -v[60:61]
	v_fma_f64 v[38:39], v[38:39], s[24:25], -v[62:63]
	;; [unrolled: 1-line block ×3, first 2 shown]
	v_fmac_f64_e32 v[60:61], s[2:3], v[48:49]
	v_fmac_f64_e32 v[62:63], s[2:3], v[50:51]
	;; [unrolled: 1-line block ×3, first 2 shown]
	v_add_f64 v[42:43], v[36:37], v[44:45]
	v_add_f64 v[70:71], v[38:39], v[46:47]
	v_fmac_f64_e32 v[40:41], s[8:9], v[54:55]
	v_add_f64 v[48:49], v[60:61], v[44:45]
	v_add_f64 v[50:51], v[62:63], v[46:47]
	v_fmac_f64_e32 v[58:59], s[8:9], v[54:55]
	v_add_f64 v[36:37], v[42:43], v[40:41]
	v_add_f64 v[38:39], v[70:71], -v[68:69]
	v_add_f64 v[40:41], v[42:43], -v[40:41]
	v_add_f64 v[42:43], v[68:69], v[70:71]
	v_add_f64 v[44:45], v[48:49], v[58:59]
	v_add_f64 v[46:47], v[50:51], -v[56:57]
	v_add_f64 v[48:49], v[48:49], -v[58:59]
	v_add_f64 v[50:51], v[56:57], v[50:51]
	s_waitcnt vmcnt(0)
	ds_write_b128 v52, v[24:27]
	ds_write_b128 v52, v[44:47] offset:16
	ds_write_b128 v52, v[36:39] offset:32
	;; [unrolled: 1-line block ×6, first 2 shown]
	v_add_f64 v[26:27], v[136:137], v[102:103]
	v_add_f64 v[26:27], v[118:119], v[26:27]
	;; [unrolled: 1-line block ×5, first 2 shown]
	v_pk_mov_b32 v[42:43], v[22:23], v[22:23] op_sel:[0,1]
	v_add_f64 v[20:21], v[20:21], v[24:25]
	v_fmac_f64_e32 v[42:43], s[16:17], v[26:27]
	v_add_f64 v[26:27], v[120:121], -v[134:135]
	v_pk_mov_b32 v[40:41], v[20:21], v[20:21] op_sel:[0,1]
	v_add_f64 v[36:37], v[134:135], -v[104:105]
	v_mul_f64 v[52:53], v[26:27], s[18:19]
	v_fmac_f64_e32 v[40:41], s[16:17], v[24:25]
	v_add_f64 v[24:25], v[120:121], v[134:135]
	v_fma_f64 v[56:57], v[36:37], s[10:11], -v[52:53]
	v_add_f64 v[60:61], v[104:105], -v[120:121]
	v_mul_f64 v[36:37], v[36:37], s[10:11]
	v_add_f64 v[48:49], v[24:25], v[104:105]
	v_fma_f64 v[64:65], v[60:61], s[26:27], -v[36:37]
	v_fmac_f64_e32 v[52:53], s[14:15], v[60:61]
	v_fmac_f64_e32 v[56:57], s[8:9], v[48:49]
	;; [unrolled: 1-line block ×4, first 2 shown]
	buffer_load_dword v48, off, s[44:47], 0 offset:736 ; 4-byte Folded Reload
	v_add_f64 v[44:45], v[116:117], -v[138:139]
	v_add_f64 v[46:47], v[118:119], -v[136:137]
	;; [unrolled: 1-line block ×5, first 2 shown]
	v_add_f64 v[28:29], v[122:123], v[132:133]
	v_add_f64 v[38:39], v[132:133], -v[106:107]
	v_mul_f64 v[54:55], v[30:31], s[18:19]
	v_mul_f64 v[24:25], v[44:45], s[2:3]
	;; [unrolled: 1-line block ×3, first 2 shown]
	v_add_f64 v[50:51], v[28:29], v[106:107]
	v_fma_f64 v[24:25], v[32:33], s[20:21], -v[24:25]
	v_fma_f64 v[26:27], v[34:35], s[20:21], -v[26:27]
	;; [unrolled: 1-line block ×3, first 2 shown]
	v_add_f64 v[28:29], v[24:25], v[40:41]
	v_add_f64 v[30:31], v[26:27], v[42:43]
	v_fmac_f64_e32 v[58:59], s[8:9], v[50:51]
	v_add_f64 v[24:25], v[28:29], -v[58:59]
	v_add_f64 v[26:27], v[56:57], v[30:31]
	v_add_f64 v[28:29], v[28:29], v[58:59]
	v_add_f64 v[30:31], v[30:31], -v[56:57]
	v_add_f64 v[56:57], v[100:101], -v[116:117]
	;; [unrolled: 1-line block ×4, first 2 shown]
	v_mul_f64 v[56:57], v[56:57], s[22:23]
	v_mul_f64 v[58:59], v[58:59], s[22:23]
	;; [unrolled: 1-line block ×3, first 2 shown]
	v_fma_f64 v[32:33], v[32:33], s[24:25], -v[56:57]
	v_fma_f64 v[34:35], v[34:35], s[24:25], -v[58:59]
	v_fma_f64 v[36:37], v[62:63], s[26:27], -v[38:39]
	v_fmac_f64_e32 v[56:57], s[2:3], v[44:45]
	v_fmac_f64_e32 v[58:59], s[2:3], v[46:47]
	;; [unrolled: 1-line block ×3, first 2 shown]
	v_add_f64 v[38:39], v[32:33], v[40:41]
	v_add_f64 v[66:67], v[34:35], v[42:43]
	v_fmac_f64_e32 v[36:37], s[8:9], v[50:51]
	v_add_f64 v[44:45], v[56:57], v[40:41]
	v_add_f64 v[46:47], v[58:59], v[42:43]
	v_fmac_f64_e32 v[54:55], s[8:9], v[50:51]
	v_add_f64 v[32:33], v[38:39], v[36:37]
	v_add_f64 v[34:35], v[66:67], -v[64:65]
	v_add_f64 v[36:37], v[38:39], -v[36:37]
	v_add_f64 v[38:39], v[64:65], v[66:67]
	v_add_f64 v[40:41], v[44:45], v[54:55]
	v_add_f64 v[42:43], v[46:47], -v[52:53]
	v_add_f64 v[44:45], v[44:45], -v[54:55]
	v_add_f64 v[46:47], v[52:53], v[46:47]
	s_waitcnt vmcnt(0)
	ds_write_b128 v48, v[20:23]
	ds_write_b128 v48, v[40:43] offset:16
	ds_write_b128 v48, v[32:35] offset:32
	;; [unrolled: 1-line block ×6, first 2 shown]
	v_add_f64 v[22:23], v[160:161], v[126:127]
	v_add_f64 v[22:23], v[142:143], v[22:23]
	;; [unrolled: 1-line block ×5, first 2 shown]
	v_pk_mov_b32 v[38:39], v[18:19], v[18:19] op_sel:[0,1]
	v_add_f64 v[16:17], v[16:17], v[20:21]
	v_fmac_f64_e32 v[38:39], s[16:17], v[22:23]
	v_add_f64 v[22:23], v[144:145], -v[158:159]
	v_pk_mov_b32 v[36:37], v[16:17], v[16:17] op_sel:[0,1]
	v_add_f64 v[32:33], v[158:159], -v[128:129]
	v_mul_f64 v[48:49], v[22:23], s[18:19]
	v_fmac_f64_e32 v[36:37], s[16:17], v[20:21]
	v_add_f64 v[20:21], v[144:145], v[158:159]
	v_fma_f64 v[52:53], v[32:33], s[10:11], -v[48:49]
	v_add_f64 v[56:57], v[128:129], -v[144:145]
	v_mul_f64 v[32:33], v[32:33], s[10:11]
	v_add_f64 v[44:45], v[20:21], v[128:129]
	v_fma_f64 v[60:61], v[56:57], s[26:27], -v[32:33]
	v_fmac_f64_e32 v[48:49], s[14:15], v[56:57]
	v_fmac_f64_e32 v[52:53], s[8:9], v[44:45]
	;; [unrolled: 1-line block ×4, first 2 shown]
	buffer_load_dword v44, off, s[44:47], 0 offset:668 ; 4-byte Folded Reload
	v_add_f64 v[40:41], v[140:141], -v[162:163]
	v_add_f64 v[42:43], v[142:143], -v[160:161]
	;; [unrolled: 1-line block ×5, first 2 shown]
	v_add_f64 v[24:25], v[146:147], v[156:157]
	v_add_f64 v[34:35], v[156:157], -v[130:131]
	v_mul_f64 v[50:51], v[26:27], s[18:19]
	v_mul_f64 v[20:21], v[40:41], s[2:3]
	;; [unrolled: 1-line block ×3, first 2 shown]
	v_add_f64 v[46:47], v[24:25], v[130:131]
	v_fma_f64 v[20:21], v[28:29], s[20:21], -v[20:21]
	v_fma_f64 v[22:23], v[30:31], s[20:21], -v[22:23]
	;; [unrolled: 1-line block ×3, first 2 shown]
	v_add_f64 v[24:25], v[20:21], v[36:37]
	v_add_f64 v[26:27], v[22:23], v[38:39]
	v_fmac_f64_e32 v[54:55], s[8:9], v[46:47]
	v_add_f64 v[20:21], v[24:25], -v[54:55]
	v_add_f64 v[22:23], v[52:53], v[26:27]
	v_add_f64 v[24:25], v[24:25], v[54:55]
	v_add_f64 v[26:27], v[26:27], -v[52:53]
	v_add_f64 v[52:53], v[124:125], -v[140:141]
	;; [unrolled: 1-line block ×4, first 2 shown]
	v_mul_f64 v[52:53], v[52:53], s[22:23]
	v_mul_f64 v[54:55], v[54:55], s[22:23]
	;; [unrolled: 1-line block ×3, first 2 shown]
	v_fma_f64 v[28:29], v[28:29], s[24:25], -v[52:53]
	v_fma_f64 v[30:31], v[30:31], s[24:25], -v[54:55]
	;; [unrolled: 1-line block ×3, first 2 shown]
	v_fmac_f64_e32 v[52:53], s[2:3], v[40:41]
	v_fmac_f64_e32 v[54:55], s[2:3], v[42:43]
	;; [unrolled: 1-line block ×3, first 2 shown]
	v_add_f64 v[34:35], v[28:29], v[36:37]
	v_add_f64 v[62:63], v[30:31], v[38:39]
	v_fmac_f64_e32 v[32:33], s[8:9], v[46:47]
	v_add_f64 v[40:41], v[52:53], v[36:37]
	v_add_f64 v[42:43], v[54:55], v[38:39]
	v_fmac_f64_e32 v[50:51], s[8:9], v[46:47]
	v_add_f64 v[28:29], v[34:35], v[32:33]
	v_add_f64 v[30:31], v[62:63], -v[60:61]
	v_add_f64 v[32:33], v[34:35], -v[32:33]
	v_add_f64 v[34:35], v[60:61], v[62:63]
	v_add_f64 v[36:37], v[40:41], v[50:51]
	v_add_f64 v[38:39], v[42:43], -v[48:49]
	v_add_f64 v[40:41], v[40:41], -v[50:51]
	v_add_f64 v[42:43], v[48:49], v[42:43]
	s_waitcnt vmcnt(0)
	ds_write_b128 v44, v[16:19]
	ds_write_b128 v44, v[36:39] offset:16
	ds_write_b128 v44, v[28:31] offset:32
	;; [unrolled: 1-line block ×6, first 2 shown]
	v_add_f64 v[26:27], v[168:169], -v[174:175]
	v_add_f64 v[32:33], v[174:175], -v[152:153]
	v_mul_f64 v[44:45], v[26:27], s[18:19]
	v_add_f64 v[24:25], v[168:169], v[174:175]
	v_fma_f64 v[48:49], v[32:33], s[10:11], -v[44:45]
	v_add_f64 v[52:53], v[152:153], -v[168:169]
	v_mul_f64 v[32:33], v[32:33], s[10:11]
	v_add_f64 v[40:41], v[24:25], v[152:153]
	v_fma_f64 v[56:57], v[52:53], s[26:27], -v[32:33]
	v_fma_f64 v[44:45], s[14:15], v[52:53], v[44:45]
	v_fmac_f64_e32 v[48:49], s[8:9], v[40:41]
	v_fmac_f64_e32 v[56:57], s[8:9], v[40:41]
	;; [unrolled: 1-line block ×3, first 2 shown]
	buffer_load_dword v40, off, s[44:47], 0 offset:216 ; 4-byte Folded Reload
	v_add_f64 v[16:17], v[178:179], v[148:149]
	v_add_f64 v[16:17], v[164:165], v[16:17]
	;; [unrolled: 1-line block ×6, first 2 shown]
	v_pk_mov_b32 v[36:37], v[20:21], v[20:21] op_sel:[0,1]
	v_fmac_f64_e32 v[36:37], s[16:17], v[16:17]
	v_pk_mov_b32 v[16:17], v[22:23], v[22:23] op_sel:[0,1]
	v_fmac_f64_e32 v[16:17], s[16:17], v[18:19]
	v_add_f64 v[18:19], v[164:165], -v[178:179]
	v_add_f64 v[38:39], v[166:167], -v[176:177]
	v_add_f64 v[30:31], v[170:171], -v[172:173]
	v_add_f64 v[12:13], v[178:179], -v[148:149]
	v_add_f64 v[14:15], v[176:177], -v[150:151]
	v_add_f64 v[28:29], v[170:171], v[172:173]
	v_add_f64 v[34:35], v[172:173], -v[154:155]
	v_mul_f64 v[46:47], v[30:31], s[18:19]
	v_mul_f64 v[24:25], v[18:19], s[2:3]
	;; [unrolled: 1-line block ×3, first 2 shown]
	v_add_f64 v[42:43], v[28:29], v[154:155]
	v_fma_f64 v[24:25], v[12:13], s[20:21], -v[24:25]
	v_fma_f64 v[26:27], v[14:15], s[20:21], -v[26:27]
	;; [unrolled: 1-line block ×3, first 2 shown]
	v_add_f64 v[28:29], v[24:25], v[36:37]
	v_add_f64 v[30:31], v[26:27], v[16:17]
	v_fmac_f64_e32 v[50:51], s[8:9], v[42:43]
	v_add_f64 v[24:25], v[28:29], -v[50:51]
	v_add_f64 v[26:27], v[48:49], v[30:31]
	v_add_f64 v[28:29], v[28:29], v[50:51]
	v_add_f64 v[30:31], v[30:31], -v[48:49]
	v_add_f64 v[48:49], v[148:149], -v[164:165]
	;; [unrolled: 1-line block ×4, first 2 shown]
	v_mul_f64 v[48:49], v[48:49], s[22:23]
	v_mul_f64 v[50:51], v[50:51], s[22:23]
	;; [unrolled: 1-line block ×3, first 2 shown]
	v_fma_f64 v[12:13], v[12:13], s[24:25], -v[48:49]
	v_fma_f64 v[14:15], v[14:15], s[24:25], -v[50:51]
	;; [unrolled: 1-line block ×3, first 2 shown]
	v_fma_f64 v[18:19], s[2:3], v[18:19], v[48:49]
	v_fmac_f64_e32 v[50:51], s[2:3], v[38:39]
	v_fmac_f64_e32 v[46:47], s[14:15], v[54:55]
	v_add_f64 v[12:13], v[12:13], v[36:37]
	v_add_f64 v[14:15], v[14:15], v[16:17]
	v_fmac_f64_e32 v[58:59], s[8:9], v[42:43]
	v_add_f64 v[18:19], v[18:19], v[36:37]
	v_add_f64 v[48:49], v[50:51], v[16:17]
	v_fmac_f64_e32 v[46:47], s[8:9], v[42:43]
	v_add_f64 v[32:33], v[12:13], v[58:59]
	v_add_f64 v[34:35], v[14:15], -v[56:57]
	v_add_f64 v[36:37], v[18:19], v[46:47]
	v_add_f64 v[38:39], v[48:49], -v[44:45]
	v_add_f64 v[12:13], v[12:13], -v[58:59]
	v_add_f64 v[14:15], v[56:57], v[14:15]
	v_add_f64 v[16:17], v[18:19], -v[46:47]
	v_add_f64 v[18:19], v[44:45], v[48:49]
	s_waitcnt vmcnt(0)
	ds_write_b128 v40, v[20:23]
	ds_write_b128 v40, v[36:39] offset:16
	ds_write_b128 v40, v[32:35] offset:32
	;; [unrolled: 1-line block ×6, first 2 shown]
	s_waitcnt lgkmcnt(0)
	; wave barrier
	s_waitcnt lgkmcnt(0)
	ds_read_b128 v[32:35], v196
	ds_read_b128 v[48:51], v196 offset:2800
	ds_read_b128 v[44:47], v196 offset:5600
	;; [unrolled: 1-line block ×32, first 2 shown]
	s_and_saveexec_b64 s[2:3], s[0:1]
	s_cbranch_execz .LBB0_7
; %bb.6:
	ds_read_b128 v[12:15], v196 offset:2640
	ds_read_b128 v[16:19], v196 offset:5440
	;; [unrolled: 1-line block ×11, first 2 shown]
.LBB0_7:
	s_or_b64 exec, exec, s[2:3]
	buffer_load_dword v52, off, s[44:47], 0 offset:620 ; 4-byte Folded Reload
	buffer_load_dword v53, off, s[44:47], 0 offset:624 ; 4-byte Folded Reload
	;; [unrolled: 1-line block ×4, first 2 shown]
	s_mov_b32 s8, 0xf8bb580b
	s_mov_b32 s14, 0x8eee2c13
	s_mov_b32 s18, 0x43842ef
	s_mov_b32 s22, 0xbb3a28a1
	s_mov_b32 s9, 0xbfe14ced
	s_mov_b32 s2, 0x8764f0ba
	s_mov_b32 s15, 0xbfed1bb4
	s_mov_b32 s10, 0xd9c712b6
	s_mov_b32 s19, 0xbfefac9e
	s_mov_b32 s16, 0x640f44db
	s_mov_b32 s23, 0xbfe82f19
	s_mov_b32 s20, 0x7f775887
	s_mov_b32 s24, 0x9bcd5057
	s_mov_b32 s3, 0x3feaeb8c
	s_mov_b32 s11, 0x3fda9628
	s_mov_b32 s17, 0xbfc2375f
	s_mov_b32 s21, 0xbfe4f49e
	s_mov_b32 s25, 0xbfeeb42a
	s_mov_b32 s27, 0x3fe14ced
	s_mov_b32 s26, s8
	s_mov_b32 s35, 0x3fed1bb4
	s_mov_b32 s34, s14
	s_mov_b32 s31, 0x3fefac9e
	s_mov_b32 s30, s18
	s_mov_b32 s39, 0x3fe82f19
	s_mov_b32 s38, s22
	s_mov_b32 s37, 0x3fd207e7
	s_mov_b32 s36, s28
	s_waitcnt vmcnt(0) lgkmcnt(14)
	v_mul_f64 v[218:219], v[54:55], v[50:51]
	v_fmac_f64_e32 v[218:219], v[52:53], v[48:49]
	v_mul_f64 v[48:49], v[54:55], v[48:49]
	v_fma_f64 v[202:203], v[52:53], v[50:51], -v[48:49]
	buffer_load_dword v48, off, s[44:47], 0 offset:604 ; 4-byte Folded Reload
	buffer_load_dword v49, off, s[44:47], 0 offset:608 ; 4-byte Folded Reload
	;; [unrolled: 1-line block ×4, first 2 shown]
	s_waitcnt vmcnt(0)
	v_mul_f64 v[188:189], v[50:51], v[46:47]
	v_fmac_f64_e32 v[188:189], v[48:49], v[44:45]
	v_mul_f64 v[44:45], v[50:51], v[44:45]
	v_fma_f64 v[190:191], v[48:49], v[46:47], -v[44:45]
	buffer_load_dword v46, off, s[44:47], 0 offset:588 ; 4-byte Folded Reload
	buffer_load_dword v47, off, s[44:47], 0 offset:592 ; 4-byte Folded Reload
	buffer_load_dword v48, off, s[44:47], 0 offset:596 ; 4-byte Folded Reload
	buffer_load_dword v49, off, s[44:47], 0 offset:600 ; 4-byte Folded Reload
	s_waitcnt vmcnt(0)
	v_mul_f64 v[180:181], v[48:49], v[178:179]
	v_mul_f64 v[44:45], v[48:49], v[176:177]
	v_fmac_f64_e32 v[180:181], v[46:47], v[176:177]
	v_fma_f64 v[182:183], v[46:47], v[178:179], -v[44:45]
	buffer_load_dword v46, off, s[44:47], 0 offset:572 ; 4-byte Folded Reload
	buffer_load_dword v47, off, s[44:47], 0 offset:576 ; 4-byte Folded Reload
	buffer_load_dword v48, off, s[44:47], 0 offset:580 ; 4-byte Folded Reload
	buffer_load_dword v49, off, s[44:47], 0 offset:584 ; 4-byte Folded Reload
	s_waitcnt vmcnt(0)
	v_mul_f64 v[88:89], v[48:49], v[174:175]
	v_mul_f64 v[44:45], v[48:49], v[172:173]
	v_fmac_f64_e32 v[88:89], v[46:47], v[172:173]
	;; [unrolled: 9-line block ×11, first 2 shown]
	v_fma_f64 v[140:141], v[46:47], v[142:143], -v[44:45]
	buffer_load_dword v46, off, s[44:47], 0 offset:792 ; 4-byte Folded Reload
	buffer_load_dword v47, off, s[44:47], 0 offset:796 ; 4-byte Folded Reload
	;; [unrolled: 1-line block ×4, first 2 shown]
	s_waitcnt vmcnt(0)
	v_mul_f64 v[136:137], v[48:49], v[134:135]
	v_mul_f64 v[44:45], v[48:49], v[132:133]
	buffer_load_dword v48, off, s[44:47], 0 offset:808 ; 4-byte Folded Reload
	buffer_load_dword v49, off, s[44:47], 0 offset:812 ; 4-byte Folded Reload
	;; [unrolled: 1-line block ×8, first 2 shown]
	v_fmac_f64_e32 v[136:137], v[46:47], v[132:133]
	v_fma_f64 v[132:133], v[46:47], v[134:135], -v[44:45]
	s_waitcnt vmcnt(4)
	v_mul_f64 v[44:45], v[50:51], v[130:131]
	v_mul_f64 v[46:47], v[50:51], v[128:129]
	s_waitcnt vmcnt(0)
	v_mul_f64 v[50:51], v[54:55], v[124:125]
	v_fmac_f64_e32 v[44:45], v[48:49], v[128:129]
	v_fma_f64 v[46:47], v[48:49], v[130:131], -v[46:47]
	v_mul_f64 v[48:49], v[54:55], v[126:127]
	v_fma_f64 v[50:51], v[52:53], v[126:127], -v[50:51]
	buffer_load_dword v126, off, s[44:47], 0 offset:840 ; 4-byte Folded Reload
	buffer_load_dword v127, off, s[44:47], 0 offset:844 ; 4-byte Folded Reload
	;; [unrolled: 1-line block ×4, first 2 shown]
	v_fmac_f64_e32 v[48:49], v[52:53], v[124:125]
	s_waitcnt vmcnt(0)
	v_mul_f64 v[124:125], v[128:129], v[122:123]
	v_mul_f64 v[52:53], v[128:129], v[120:121]
	v_fmac_f64_e32 v[124:125], v[126:127], v[120:121]
	v_fma_f64 v[120:121], v[126:127], v[122:123], -v[52:53]
	buffer_load_dword v126, off, s[44:47], 0 offset:860 ; 4-byte Folded Reload
	buffer_load_dword v127, off, s[44:47], 0 offset:864 ; 4-byte Folded Reload
	;; [unrolled: 1-line block ×4, first 2 shown]
	s_waitcnt lgkmcnt(0)
	; wave barrier
	s_waitcnt vmcnt(0) lgkmcnt(0)
	v_mul_f64 v[122:123], v[128:129], v[118:119]
	v_mul_f64 v[52:53], v[128:129], v[116:117]
	v_fmac_f64_e32 v[122:123], v[126:127], v[116:117]
	v_fma_f64 v[116:117], v[126:127], v[118:119], -v[52:53]
	v_accvgpr_read_b32 v129, a11
	v_accvgpr_read_b32 v128, a10
	v_accvgpr_read_b32 v127, a9
	v_accvgpr_read_b32 v126, a8
	v_mul_f64 v[118:119], v[128:129], v[114:115]
	v_mul_f64 v[52:53], v[128:129], v[112:113]
	v_fmac_f64_e32 v[118:119], v[126:127], v[112:113]
	v_fma_f64 v[112:113], v[126:127], v[114:115], -v[52:53]
	v_accvgpr_read_b32 v129, a7
	v_accvgpr_read_b32 v128, a6
	v_accvgpr_read_b32 v127, a5
	v_accvgpr_read_b32 v126, a4
	;; [unrolled: 8-line block ×5, first 2 shown]
	v_mul_f64 v[160:161], v[102:103], v[94:95]
	v_fmac_f64_e32 v[160:161], v[100:101], v[92:93]
	v_mul_f64 v[92:93], v[102:103], v[92:93]
	v_fma_f64 v[162:163], v[100:101], v[94:95], -v[92:93]
	v_accvgpr_read_b32 v95, a15
	v_accvgpr_read_b32 v94, a14
	v_accvgpr_read_b32 v93, a13
	v_accvgpr_read_b32 v92, a12
	v_mul_f64 v[152:153], v[94:95], v[82:83]
	v_fmac_f64_e32 v[152:153], v[92:93], v[80:81]
	v_mul_f64 v[80:81], v[94:95], v[80:81]
	v_fma_f64 v[154:155], v[92:93], v[82:83], -v[80:81]
	v_accvgpr_read_b32 v83, a43
	v_accvgpr_read_b32 v82, a42
	v_accvgpr_read_b32 v81, a41
	v_accvgpr_read_b32 v80, a40
	;; [unrolled: 8-line block ×7, first 2 shown]
	v_mul_f64 v[176:177], v[38:39], v[30:31]
	v_fmac_f64_e32 v[176:177], v[36:37], v[28:29]
	v_mul_f64 v[28:29], v[38:39], v[28:29]
	v_add_f64 v[42:43], v[202:203], -v[206:207]
	v_fma_f64 v[178:179], v[36:37], v[30:31], -v[28:29]
	v_add_f64 v[36:37], v[218:219], v[204:205]
	v_add_f64 v[38:39], v[202:203], v[206:207]
	v_mul_f64 v[68:69], v[42:43], s[8:9]
	v_mul_f64 v[76:77], v[42:43], s[14:15]
	;; [unrolled: 1-line block ×5, first 2 shown]
	v_add_f64 v[40:41], v[218:219], -v[204:205]
	v_fma_f64 v[70:71], s[2:3], v[36:37], v[68:69]
	v_mul_f64 v[72:73], v[38:39], s[2:3]
	v_fma_f64 v[68:69], v[36:37], s[2:3], -v[68:69]
	v_fma_f64 v[78:79], s[10:11], v[36:37], v[76:77]
	v_mul_f64 v[80:81], v[38:39], s[10:11]
	v_fma_f64 v[76:77], v[36:37], s[10:11], -v[76:77]
	;; [unrolled: 3-line block ×5, first 2 shown]
	v_add_f64 v[42:43], v[190:191], -v[194:195]
	v_add_f64 v[28:29], v[32:33], v[218:219]
	v_add_f64 v[70:71], v[32:33], v[70:71]
	v_fma_f64 v[74:75], s[26:27], v[40:41], v[72:73]
	v_add_f64 v[68:69], v[32:33], v[68:69]
	v_fmac_f64_e32 v[72:73], s[8:9], v[40:41]
	v_add_f64 v[78:79], v[32:33], v[78:79]
	v_fma_f64 v[82:83], s[34:35], v[40:41], v[80:81]
	v_add_f64 v[76:77], v[32:33], v[76:77]
	v_fmac_f64_e32 v[80:81], s[14:15], v[40:41]
	;; [unrolled: 4-line block ×5, first 2 shown]
	v_add_f64 v[36:37], v[188:189], v[192:193]
	v_mul_f64 v[134:135], v[42:43], s[14:15]
	v_add_f64 v[30:31], v[34:35], v[202:203]
	v_add_f64 v[74:75], v[34:35], v[74:75]
	;; [unrolled: 1-line block ×12, first 2 shown]
	v_fma_f64 v[142:143], s[10:11], v[36:37], v[134:135]
	v_add_f64 v[40:41], v[188:189], -v[192:193]
	v_add_f64 v[70:71], v[142:143], v[70:71]
	v_mul_f64 v[142:143], v[38:39], s[10:11]
	v_fma_f64 v[134:135], v[36:37], s[10:11], -v[134:135]
	v_add_f64 v[28:29], v[28:29], v[188:189]
	v_fma_f64 v[188:189], s[34:35], v[40:41], v[142:143]
	v_add_f64 v[68:69], v[134:135], v[68:69]
	v_fmac_f64_e32 v[142:143], s[14:15], v[40:41]
	v_mul_f64 v[134:135], v[42:43], s[22:23]
	v_add_f64 v[72:73], v[142:143], v[72:73]
	v_fma_f64 v[142:143], s[20:21], v[36:37], v[134:135]
	v_add_f64 v[78:79], v[142:143], v[78:79]
	v_mul_f64 v[142:143], v[38:39], s[20:21]
	v_fma_f64 v[134:135], v[36:37], s[20:21], -v[134:135]
	v_add_f64 v[74:75], v[188:189], v[74:75]
	v_fma_f64 v[188:189], s[38:39], v[40:41], v[142:143]
	v_add_f64 v[76:77], v[134:135], v[76:77]
	v_fmac_f64_e32 v[142:143], s[22:23], v[40:41]
	v_mul_f64 v[134:135], v[42:43], s[36:37]
	v_add_f64 v[80:81], v[142:143], v[80:81]
	v_fma_f64 v[142:143], s[24:25], v[36:37], v[134:135]
	;; [unrolled: 10-line block ×3, first 2 shown]
	v_fma_f64 v[134:135], v[36:37], s[16:17], -v[134:135]
	v_mul_f64 v[42:43], v[42:43], s[26:27]
	v_add_f64 v[106:107], v[142:143], v[106:107]
	v_mul_f64 v[142:143], v[38:39], s[16:17]
	v_add_f64 v[104:105], v[134:135], v[104:105]
	v_fma_f64 v[134:135], s[2:3], v[36:37], v[42:43]
	v_mul_f64 v[38:39], v[38:39], s[2:3]
	v_add_f64 v[128:129], v[134:135], v[128:129]
	v_fma_f64 v[134:135], s[8:9], v[40:41], v[38:39]
	v_fma_f64 v[36:37], v[36:37], s[2:3], -v[42:43]
	v_add_f64 v[42:43], v[182:183], -v[186:187]
	v_add_f64 v[102:103], v[188:189], v[102:103]
	v_fma_f64 v[188:189], s[18:19], v[40:41], v[142:143]
	v_fmac_f64_e32 v[142:143], s[30:31], v[40:41]
	v_add_f64 v[130:131], v[134:135], v[130:131]
	v_add_f64 v[32:33], v[36:37], v[32:33]
	v_fmac_f64_e32 v[38:39], s[26:27], v[40:41]
	v_add_f64 v[36:37], v[180:181], v[184:185]
	v_mul_f64 v[134:135], v[42:43], s[18:19]
	v_add_f64 v[108:109], v[142:143], v[108:109]
	v_add_f64 v[34:35], v[38:39], v[34:35]
	;; [unrolled: 1-line block ×3, first 2 shown]
	v_fma_f64 v[142:143], s[16:17], v[36:37], v[134:135]
	v_add_f64 v[40:41], v[180:181], -v[184:185]
	v_add_f64 v[70:71], v[142:143], v[70:71]
	v_mul_f64 v[142:143], v[38:39], s[16:17]
	v_fma_f64 v[134:135], v[36:37], s[16:17], -v[134:135]
	v_add_f64 v[28:29], v[28:29], v[180:181]
	v_fma_f64 v[180:181], s[30:31], v[40:41], v[142:143]
	v_add_f64 v[68:69], v[134:135], v[68:69]
	v_fmac_f64_e32 v[142:143], s[18:19], v[40:41]
	v_mul_f64 v[134:135], v[42:43], s[36:37]
	v_add_f64 v[72:73], v[142:143], v[72:73]
	v_fma_f64 v[142:143], s[24:25], v[36:37], v[134:135]
	v_add_f64 v[78:79], v[142:143], v[78:79]
	v_mul_f64 v[142:143], v[38:39], s[24:25]
	v_fma_f64 v[134:135], v[36:37], s[24:25], -v[134:135]
	v_add_f64 v[74:75], v[180:181], v[74:75]
	v_fma_f64 v[180:181], s[28:29], v[40:41], v[142:143]
	v_add_f64 v[76:77], v[134:135], v[76:77]
	v_fmac_f64_e32 v[142:143], s[36:37], v[40:41]
	v_mul_f64 v[134:135], v[42:43], s[34:35]
	v_add_f64 v[80:81], v[142:143], v[80:81]
	v_fma_f64 v[142:143], s[10:11], v[36:37], v[134:135]
	;; [unrolled: 10-line block ×3, first 2 shown]
	v_fma_f64 v[134:135], v[36:37], s[2:3], -v[134:135]
	v_mul_f64 v[42:43], v[42:43], s[22:23]
	v_add_f64 v[30:31], v[30:31], v[190:191]
	v_add_f64 v[106:107], v[142:143], v[106:107]
	v_mul_f64 v[142:143], v[38:39], s[2:3]
	v_add_f64 v[104:105], v[134:135], v[104:105]
	v_fma_f64 v[134:135], s[20:21], v[36:37], v[42:43]
	v_mul_f64 v[38:39], v[38:39], s[20:21]
	v_fma_f64 v[36:37], v[36:37], s[20:21], -v[42:43]
	v_add_f64 v[42:43], v[90:91], -v[98:99]
	v_add_f64 v[30:31], v[30:31], v[182:183]
	v_add_f64 v[28:29], v[28:29], v[88:89]
	;; [unrolled: 1-line block ×3, first 2 shown]
	v_fma_f64 v[180:181], s[26:27], v[40:41], v[142:143]
	v_fmac_f64_e32 v[142:143], s[8:9], v[40:41]
	v_add_f64 v[128:129], v[134:135], v[128:129]
	v_fma_f64 v[134:135], s[38:39], v[40:41], v[38:39]
	v_add_f64 v[32:33], v[36:37], v[32:33]
	v_fmac_f64_e32 v[38:39], s[22:23], v[40:41]
	v_add_f64 v[36:37], v[88:89], v[96:97]
	v_add_f64 v[40:41], v[88:89], -v[96:97]
	v_mul_f64 v[88:89], v[42:43], s[22:23]
	v_add_f64 v[30:31], v[30:31], v[90:91]
	v_add_f64 v[28:29], v[28:29], v[64:65]
	;; [unrolled: 1-line block ×4, first 2 shown]
	v_fma_f64 v[90:91], s[20:21], v[36:37], v[88:89]
	v_add_f64 v[28:29], v[28:29], v[84:85]
	v_add_f64 v[70:71], v[90:91], v[70:71]
	v_mul_f64 v[90:91], v[38:39], s[20:21]
	v_fma_f64 v[88:89], v[36:37], s[20:21], -v[88:89]
	v_add_f64 v[28:29], v[28:29], v[96:97]
	v_fma_f64 v[96:97], s[38:39], v[40:41], v[90:91]
	v_add_f64 v[68:69], v[88:89], v[68:69]
	v_fmac_f64_e32 v[90:91], s[22:23], v[40:41]
	v_mul_f64 v[88:89], v[42:43], s[30:31]
	v_add_f64 v[72:73], v[90:91], v[72:73]
	v_fma_f64 v[90:91], s[16:17], v[36:37], v[88:89]
	v_add_f64 v[78:79], v[90:91], v[78:79]
	v_mul_f64 v[90:91], v[38:39], s[16:17]
	v_fma_f64 v[88:89], v[36:37], s[16:17], -v[88:89]
	v_add_f64 v[74:75], v[96:97], v[74:75]
	v_fma_f64 v[96:97], s[18:19], v[40:41], v[90:91]
	v_add_f64 v[76:77], v[88:89], v[76:77]
	v_fmac_f64_e32 v[90:91], s[30:31], v[40:41]
	v_mul_f64 v[88:89], v[42:43], s[8:9]
	v_add_f64 v[80:81], v[90:91], v[80:81]
	v_fma_f64 v[90:91], s[2:3], v[36:37], v[88:89]
	v_add_f64 v[90:91], v[90:91], v[94:95]
	v_mul_f64 v[94:95], v[38:39], s[2:3]
	v_add_f64 v[30:31], v[30:31], v[66:67]
	v_add_f64 v[82:83], v[96:97], v[82:83]
	v_fma_f64 v[96:97], s[26:27], v[40:41], v[94:95]
	v_fma_f64 v[88:89], v[36:37], s[2:3], -v[88:89]
	v_fmac_f64_e32 v[94:95], s[8:9], v[40:41]
	v_add_f64 v[30:31], v[30:31], v[86:87]
	v_add_f64 v[88:89], v[88:89], v[92:93]
	;; [unrolled: 1-line block ×3, first 2 shown]
	v_mul_f64 v[94:95], v[42:43], s[28:29]
	v_add_f64 v[30:31], v[30:31], v[98:99]
	v_fma_f64 v[98:99], s[24:25], v[36:37], v[94:95]
	v_fma_f64 v[94:95], v[36:37], s[24:25], -v[94:95]
	v_mul_f64 v[42:43], v[42:43], s[34:35]
	v_add_f64 v[110:111], v[188:189], v[110:111]
	v_mul_f64 v[100:101], v[38:39], s[24:25]
	v_add_f64 v[104:105], v[94:95], v[104:105]
	v_fma_f64 v[94:95], s[10:11], v[36:37], v[42:43]
	v_mul_f64 v[38:39], v[38:39], s[10:11]
	v_add_f64 v[110:111], v[180:181], v[110:111]
	v_add_f64 v[108:109], v[142:143], v[108:109]
	;; [unrolled: 1-line block ×5, first 2 shown]
	v_fma_f64 v[102:103], s[36:37], v[40:41], v[100:101]
	v_fmac_f64_e32 v[100:101], s[28:29], v[40:41]
	v_add_f64 v[106:107], v[94:95], v[128:129]
	v_fma_f64 v[94:95], s[14:15], v[40:41], v[38:39]
	v_fma_f64 v[36:37], v[36:37], s[10:11], -v[42:43]
	v_add_f64 v[134:135], v[66:67], v[86:87]
	v_add_f64 v[66:67], v[66:67], -v[86:87]
	v_add_f64 v[102:103], v[102:103], v[110:111]
	v_add_f64 v[100:101], v[100:101], v[108:109]
	;; [unrolled: 1-line block ×4, first 2 shown]
	v_fmac_f64_e32 v[38:39], s[34:35], v[40:41]
	v_add_f64 v[130:131], v[64:65], v[84:85]
	v_mul_f64 v[32:33], v[66:67], s[28:29]
	v_add_f64 v[128:129], v[38:39], v[34:35]
	v_fma_f64 v[34:35], s[24:25], v[130:131], v[32:33]
	v_add_f64 v[64:65], v[64:65], -v[84:85]
	v_add_f64 v[40:41], v[34:35], v[70:71]
	v_mul_f64 v[34:35], v[134:135], s[24:25]
	v_fma_f64 v[36:37], s[36:37], v[64:65], v[34:35]
	v_add_f64 v[42:43], v[36:37], v[74:75]
	v_mul_f64 v[36:37], v[66:67], s[26:27]
	v_fmac_f64_e32 v[34:35], s[28:29], v[64:65]
	v_fma_f64 v[38:39], s[2:3], v[130:131], v[36:37]
	v_fma_f64 v[32:33], v[130:131], s[24:25], -v[32:33]
	v_add_f64 v[34:35], v[34:35], v[72:73]
	v_add_f64 v[72:73], v[38:39], v[78:79]
	v_mul_f64 v[38:39], v[134:135], s[2:3]
	v_add_f64 v[32:33], v[32:33], v[68:69]
	v_fma_f64 v[68:69], s[8:9], v[64:65], v[38:39]
	v_add_f64 v[74:75], v[68:69], v[82:83]
	v_mul_f64 v[68:69], v[66:67], s[22:23]
	v_fma_f64 v[36:37], v[130:131], s[2:3], -v[36:37]
	v_fmac_f64_e32 v[38:39], s[26:27], v[64:65]
	v_fma_f64 v[70:71], s[20:21], v[130:131], v[68:69]
	v_add_f64 v[36:37], v[36:37], v[76:77]
	v_add_f64 v[38:39], v[38:39], v[80:81]
	;; [unrolled: 1-line block ×3, first 2 shown]
	v_mul_f64 v[70:71], v[134:135], s[20:21]
	v_mul_f64 v[80:81], v[66:67], s[34:35]
	v_fma_f64 v[78:79], s[38:39], v[64:65], v[70:71]
	v_fmac_f64_e32 v[70:71], s[22:23], v[64:65]
	v_fma_f64 v[82:83], s[10:11], v[130:131], v[80:81]
	v_add_f64 v[70:71], v[70:71], v[92:93]
	v_add_f64 v[92:93], v[82:83], v[98:99]
	v_mul_f64 v[82:83], v[134:135], s[10:11]
	v_fma_f64 v[84:85], s[14:15], v[64:65], v[82:83]
	v_mul_f64 v[66:67], v[66:67], s[18:19]
	v_add_f64 v[94:95], v[84:85], v[102:103]
	v_fma_f64 v[80:81], v[130:131], s[10:11], -v[80:81]
	v_fmac_f64_e32 v[82:83], s[34:35], v[64:65]
	v_fma_f64 v[84:85], s[16:17], v[130:131], v[66:67]
	v_fma_f64 v[66:67], v[130:131], s[16:17], -v[66:67]
	v_add_f64 v[80:81], v[80:81], v[104:105]
	v_add_f64 v[82:83], v[82:83], v[100:101]
	;; [unrolled: 1-line block ×3, first 2 shown]
	v_mul_f64 v[84:85], v[134:135], s[16:17]
	v_add_f64 v[104:105], v[66:67], v[110:111]
	v_add_f64 v[66:67], v[26:27], v[62:63]
	v_fma_f64 v[86:87], s[30:31], v[64:65], v[84:85]
	v_fmac_f64_e32 v[84:85], s[18:19], v[64:65]
	v_add_f64 v[64:65], v[24:25], v[60:61]
	v_add_f64 v[66:67], v[66:67], v[58:59]
	;; [unrolled: 1-line block ×19, first 2 shown]
	v_add_f64 v[62:63], v[62:63], -v[126:127]
	v_add_f64 v[78:79], v[78:79], v[96:97]
	v_add_f64 v[102:103], v[86:87], v[108:109]
	;; [unrolled: 1-line block ×5, first 2 shown]
	v_mul_f64 v[84:85], v[62:63], s[8:9]
	v_mul_f64 v[96:97], v[62:63], s[14:15]
	;; [unrolled: 1-line block ×5, first 2 shown]
	v_fma_f64 v[68:69], v[130:131], s[20:21], -v[68:69]
	v_fma_f64 v[86:87], s[2:3], v[64:65], v[84:85]
	v_fma_f64 v[84:85], v[64:65], s[2:3], -v[84:85]
	v_fma_f64 v[98:99], s[10:11], v[64:65], v[96:97]
	;; [unrolled: 2-line block ×5, first 2 shown]
	v_fma_f64 v[62:63], v[64:65], s[24:25], -v[62:63]
	v_add_f64 v[28:29], v[28:29], v[184:185]
	v_add_f64 v[68:69], v[68:69], v[88:89]
	v_add_f64 v[60:61], v[60:61], -v[114:115]
	v_add_f64 v[86:87], v[24:25], v[86:87]
	v_mul_f64 v[88:89], v[66:67], s[2:3]
	v_add_f64 v[84:85], v[24:25], v[84:85]
	v_add_f64 v[98:99], v[24:25], v[98:99]
	v_mul_f64 v[114:115], v[66:67], s[10:11]
	v_add_f64 v[96:97], v[24:25], v[96:97]
	;; [unrolled: 3-line block ×5, first 2 shown]
	v_add_f64 v[62:63], v[58:59], v[112:113]
	v_add_f64 v[58:59], v[58:59], -v[112:113]
	v_add_f64 v[30:31], v[30:31], v[186:187]
	v_fma_f64 v[90:91], s[26:27], v[60:61], v[88:89]
	v_fmac_f64_e32 v[88:89], s[8:9], v[60:61]
	v_fma_f64 v[126:127], s[34:35], v[60:61], v[114:115]
	v_fmac_f64_e32 v[114:115], s[14:15], v[60:61]
	;; [unrolled: 2-line block ×5, first 2 shown]
	v_add_f64 v[60:61], v[56:57], v[118:119]
	v_mul_f64 v[64:65], v[58:59], s[14:15]
	v_add_f64 v[90:91], v[26:27], v[90:91]
	v_add_f64 v[88:89], v[26:27], v[88:89]
	;; [unrolled: 1-line block ×10, first 2 shown]
	v_fma_f64 v[66:67], s[10:11], v[60:61], v[64:65]
	v_add_f64 v[56:57], v[56:57], -v[118:119]
	v_add_f64 v[66:67], v[66:67], v[86:87]
	v_mul_f64 v[86:87], v[62:63], s[10:11]
	v_fma_f64 v[112:113], s[34:35], v[56:57], v[86:87]
	v_fma_f64 v[64:65], v[60:61], s[10:11], -v[64:65]
	v_fmac_f64_e32 v[86:87], s[14:15], v[56:57]
	v_add_f64 v[64:65], v[64:65], v[84:85]
	v_add_f64 v[84:85], v[86:87], v[88:89]
	v_mul_f64 v[86:87], v[58:59], s[22:23]
	v_fma_f64 v[88:89], s[20:21], v[60:61], v[86:87]
	v_add_f64 v[88:89], v[88:89], v[98:99]
	v_mul_f64 v[98:99], v[62:63], s[20:21]
	v_add_f64 v[90:91], v[112:113], v[90:91]
	v_fma_f64 v[112:113], s[38:39], v[56:57], v[98:99]
	v_fma_f64 v[86:87], v[60:61], s[20:21], -v[86:87]
	v_fmac_f64_e32 v[98:99], s[22:23], v[56:57]
	v_add_f64 v[86:87], v[86:87], v[96:97]
	v_add_f64 v[96:97], v[98:99], v[114:115]
	v_mul_f64 v[98:99], v[58:59], s[36:37]
	v_fma_f64 v[114:115], s[24:25], v[60:61], v[98:99]
	v_mul_f64 v[118:119], v[62:63], s[24:25]
	v_fma_f64 v[98:99], v[60:61], s[24:25], -v[98:99]
	v_add_f64 v[112:113], v[112:113], v[126:127]
	v_fma_f64 v[126:127], s[28:29], v[56:57], v[118:119]
	v_add_f64 v[98:99], v[98:99], v[128:129]
	v_fmac_f64_e32 v[118:119], s[36:37], v[56:57]
	v_mul_f64 v[128:129], v[58:59], s[30:31]
	v_add_f64 v[114:115], v[114:115], v[130:131]
	v_add_f64 v[118:119], v[118:119], v[134:135]
	v_fma_f64 v[130:131], s[16:17], v[60:61], v[128:129]
	v_mul_f64 v[134:135], v[62:63], s[16:17]
	v_mul_f64 v[62:63], v[62:63], s[2:3]
	v_add_f64 v[130:131], v[130:131], v[182:183]
	v_fma_f64 v[128:129], v[60:61], s[16:17], -v[128:129]
	v_mul_f64 v[58:59], v[58:59], s[26:27]
	v_fma_f64 v[182:183], s[8:9], v[56:57], v[62:63]
	v_fmac_f64_e32 v[62:63], s[26:27], v[56:57]
	v_add_f64 v[128:129], v[128:129], v[180:181]
	v_fma_f64 v[180:181], s[2:3], v[60:61], v[58:59]
	v_fma_f64 v[58:59], v[60:61], s[2:3], -v[58:59]
	v_add_f64 v[26:27], v[62:63], v[26:27]
	v_add_f64 v[62:63], v[140:141], -v[116:117]
	v_add_f64 v[126:127], v[126:127], v[142:143]
	v_fma_f64 v[142:143], s[18:19], v[56:57], v[134:135]
	v_fmac_f64_e32 v[134:135], s[30:31], v[56:57]
	v_add_f64 v[24:25], v[58:59], v[24:25]
	v_add_f64 v[56:57], v[138:139], v[122:123]
	;; [unrolled: 1-line block ×3, first 2 shown]
	v_mul_f64 v[116:117], v[62:63], s[18:19]
	v_add_f64 v[60:61], v[138:139], -v[122:123]
	v_fma_f64 v[122:123], s[16:17], v[56:57], v[116:117]
	v_add_f64 v[66:67], v[122:123], v[66:67]
	v_mul_f64 v[122:123], v[58:59], s[16:17]
	v_fma_f64 v[116:117], v[56:57], s[16:17], -v[116:117]
	v_fma_f64 v[138:139], s[30:31], v[60:61], v[122:123]
	v_add_f64 v[64:65], v[116:117], v[64:65]
	v_fmac_f64_e32 v[122:123], s[18:19], v[60:61]
	v_mul_f64 v[116:117], v[62:63], s[36:37]
	v_add_f64 v[84:85], v[122:123], v[84:85]
	v_fma_f64 v[122:123], s[24:25], v[56:57], v[116:117]
	v_add_f64 v[88:89], v[122:123], v[88:89]
	v_mul_f64 v[122:123], v[58:59], s[24:25]
	v_fma_f64 v[116:117], v[56:57], s[24:25], -v[116:117]
	v_add_f64 v[90:91], v[138:139], v[90:91]
	v_fma_f64 v[138:139], s[28:29], v[60:61], v[122:123]
	v_add_f64 v[86:87], v[116:117], v[86:87]
	v_fmac_f64_e32 v[122:123], s[36:37], v[60:61]
	v_mul_f64 v[116:117], v[62:63], s[34:35]
	v_add_f64 v[96:97], v[122:123], v[96:97]
	v_fma_f64 v[122:123], s[10:11], v[56:57], v[116:117]
	v_add_f64 v[114:115], v[122:123], v[114:115]
	v_mul_f64 v[122:123], v[58:59], s[10:11]
	v_add_f64 v[112:113], v[138:139], v[112:113]
	v_fma_f64 v[138:139], s[14:15], v[60:61], v[122:123]
	v_fma_f64 v[116:117], v[56:57], s[10:11], -v[116:117]
	v_fmac_f64_e32 v[122:123], s[34:35], v[60:61]
	v_add_f64 v[98:99], v[116:117], v[98:99]
	v_add_f64 v[116:117], v[122:123], v[118:119]
	v_mul_f64 v[118:119], v[62:63], s[8:9]
	v_fma_f64 v[122:123], s[2:3], v[56:57], v[118:119]
	v_add_f64 v[122:123], v[122:123], v[130:131]
	v_mul_f64 v[130:131], v[58:59], s[2:3]
	v_add_f64 v[134:135], v[134:135], v[184:185]
	v_add_f64 v[126:127], v[138:139], v[126:127]
	v_fma_f64 v[138:139], s[26:27], v[60:61], v[130:131]
	v_fma_f64 v[118:119], v[56:57], s[2:3], -v[118:119]
	v_fmac_f64_e32 v[130:131], s[8:9], v[60:61]
	v_mul_f64 v[62:63], v[62:63], s[22:23]
	v_mul_f64 v[58:59], v[58:59], s[20:21]
	v_add_f64 v[118:119], v[118:119], v[128:129]
	v_add_f64 v[128:129], v[130:131], v[134:135]
	v_fma_f64 v[130:131], s[20:21], v[56:57], v[62:63]
	v_fma_f64 v[134:135], s[38:39], v[60:61], v[58:59]
	v_fma_f64 v[56:57], v[56:57], s[20:21], -v[62:63]
	v_fmac_f64_e32 v[58:59], s[22:23], v[60:61]
	v_add_f64 v[62:63], v[132:133], -v[120:121]
	v_add_f64 v[24:25], v[56:57], v[24:25]
	v_add_f64 v[26:27], v[58:59], v[26:27]
	v_add_f64 v[56:57], v[136:137], v[124:125]
	v_add_f64 v[58:59], v[132:133], v[120:121]
	v_mul_f64 v[120:121], v[62:63], s[22:23]
	v_add_f64 v[60:61], v[136:137], -v[124:125]
	v_fma_f64 v[124:125], s[20:21], v[56:57], v[120:121]
	v_add_f64 v[66:67], v[124:125], v[66:67]
	v_mul_f64 v[124:125], v[58:59], s[20:21]
	v_fma_f64 v[120:121], v[56:57], s[20:21], -v[120:121]
	v_fma_f64 v[132:133], s[38:39], v[60:61], v[124:125]
	v_add_f64 v[64:65], v[120:121], v[64:65]
	v_fmac_f64_e32 v[124:125], s[22:23], v[60:61]
	v_mul_f64 v[120:121], v[62:63], s[30:31]
	v_add_f64 v[84:85], v[124:125], v[84:85]
	v_fma_f64 v[124:125], s[16:17], v[56:57], v[120:121]
	v_add_f64 v[88:89], v[124:125], v[88:89]
	v_mul_f64 v[124:125], v[58:59], s[16:17]
	v_fma_f64 v[120:121], v[56:57], s[16:17], -v[120:121]
	v_add_f64 v[90:91], v[132:133], v[90:91]
	v_fma_f64 v[132:133], s[18:19], v[60:61], v[124:125]
	v_add_f64 v[86:87], v[120:121], v[86:87]
	v_fmac_f64_e32 v[124:125], s[30:31], v[60:61]
	v_mul_f64 v[120:121], v[62:63], s[8:9]
	v_add_f64 v[96:97], v[124:125], v[96:97]
	v_fma_f64 v[124:125], s[2:3], v[56:57], v[120:121]
	v_add_f64 v[124:125], v[124:125], v[114:115]
	v_mul_f64 v[114:115], v[58:59], s[2:3]
	v_add_f64 v[112:113], v[132:133], v[112:113]
	v_fma_f64 v[132:133], s[26:27], v[60:61], v[114:115]
	v_fmac_f64_e32 v[114:115], s[8:9], v[60:61]
	v_add_f64 v[126:127], v[132:133], v[126:127]
	v_add_f64 v[132:133], v[114:115], v[116:117]
	v_mul_f64 v[114:115], v[62:63], s[28:29]
	v_add_f64 v[180:181], v[180:181], v[188:189]
	v_fma_f64 v[116:117], s[24:25], v[56:57], v[114:115]
	v_fma_f64 v[114:115], v[56:57], s[24:25], -v[114:115]
	v_mul_f64 v[62:63], v[62:63], s[34:35]
	v_add_f64 v[182:183], v[182:183], v[190:191]
	v_add_f64 v[130:131], v[130:131], v[180:181]
	v_fma_f64 v[120:121], v[56:57], s[2:3], -v[120:121]
	v_add_f64 v[136:137], v[116:117], v[122:123]
	v_mul_f64 v[116:117], v[58:59], s[24:25]
	v_add_f64 v[140:141], v[114:115], v[118:119]
	v_fma_f64 v[114:115], s[10:11], v[56:57], v[62:63]
	v_mul_f64 v[58:59], v[58:59], s[10:11]
	v_add_f64 v[184:185], v[46:47], -v[50:51]
	v_add_f64 v[134:135], v[134:135], v[182:183]
	v_add_f64 v[98:99], v[120:121], v[98:99]
	v_fma_f64 v[120:121], s[36:37], v[60:61], v[116:117]
	v_fmac_f64_e32 v[116:117], s[28:29], v[60:61]
	v_add_f64 v[180:181], v[114:115], v[130:131]
	v_fma_f64 v[114:115], s[14:15], v[60:61], v[58:59]
	v_fma_f64 v[56:57], v[56:57], s[10:11], -v[62:63]
	v_fmac_f64_e32 v[58:59], s[34:35], v[60:61]
	v_add_f64 v[60:61], v[44:45], v[48:49]
	v_add_f64 v[182:183], v[44:45], -v[48:49]
	v_mul_f64 v[48:49], v[184:185], s[26:27]
	v_add_f64 v[142:143], v[142:143], v[186:187]
	v_add_f64 v[56:57], v[56:57], v[24:25]
	v_add_f64 v[62:63], v[46:47], v[50:51]
	v_mul_f64 v[24:25], v[184:185], s[28:29]
	v_fma_f64 v[50:51], s[2:3], v[60:61], v[48:49]
	v_add_f64 v[138:139], v[138:139], v[142:143]
	v_add_f64 v[142:143], v[116:117], v[128:129]
	;; [unrolled: 1-line block ×3, first 2 shown]
	v_fma_f64 v[26:27], s[24:25], v[60:61], v[24:25]
	v_fma_f64 v[24:25], v[60:61], s[24:25], -v[24:25]
	v_add_f64 v[116:117], v[50:51], v[88:89]
	v_mul_f64 v[50:51], v[62:63], s[2:3]
	v_add_f64 v[24:25], v[24:25], v[64:65]
	v_fma_f64 v[64:65], s[8:9], v[182:183], v[50:51]
	v_fma_f64 v[48:49], v[60:61], s[2:3], -v[48:49]
	v_add_f64 v[118:119], v[64:65], v[112:113]
	v_add_f64 v[112:113], v[48:49], v[86:87]
	v_fmac_f64_e32 v[50:51], s[26:27], v[182:183]
	v_mul_f64 v[48:49], v[184:185], s[22:23]
	v_add_f64 v[134:135], v[114:115], v[134:135]
	v_add_f64 v[114:115], v[50:51], v[96:97]
	v_fma_f64 v[50:51], s[20:21], v[60:61], v[48:49]
	v_add_f64 v[138:139], v[120:121], v[138:139]
	v_add_f64 v[120:121], v[50:51], v[124:125]
	v_mul_f64 v[50:51], v[62:63], s[20:21]
	v_fma_f64 v[64:65], s[38:39], v[182:183], v[50:51]
	v_add_f64 v[122:123], v[64:65], v[126:127]
	v_mul_f64 v[64:65], v[184:185], s[34:35]
	v_add_f64 v[44:45], v[26:27], v[66:67]
	v_mul_f64 v[26:27], v[62:63], s[24:25]
	v_fma_f64 v[66:67], s[10:11], v[60:61], v[64:65]
	v_fma_f64 v[46:47], s[36:37], v[182:183], v[26:27]
	v_fmac_f64_e32 v[26:27], s[28:29], v[182:183]
	v_add_f64 v[128:129], v[66:67], v[136:137]
	v_mul_f64 v[66:67], v[62:63], s[10:11]
	v_fma_f64 v[64:65], v[60:61], s[10:11], -v[64:65]
	v_add_f64 v[26:27], v[26:27], v[84:85]
	v_fma_f64 v[84:85], s[14:15], v[182:183], v[66:67]
	v_add_f64 v[124:125], v[64:65], v[140:141]
	v_fmac_f64_e32 v[66:67], s[34:35], v[182:183]
	v_mul_f64 v[64:65], v[184:185], s[18:19]
	v_fmac_f64_e32 v[50:51], s[22:23], v[182:183]
	v_add_f64 v[126:127], v[66:67], v[142:143]
	v_fma_f64 v[66:67], s[16:17], v[60:61], v[64:65]
	v_mul_f64 v[62:63], v[62:63], s[16:17]
	v_add_f64 v[50:51], v[50:51], v[132:133]
	v_add_f64 v[132:133], v[66:67], v[180:181]
	v_fma_f64 v[66:67], s[30:31], v[182:183], v[62:63]
	v_fmac_f64_e32 v[62:63], s[18:19], v[182:183]
	v_fma_f64 v[48:49], v[60:61], s[20:21], -v[48:49]
	v_add_f64 v[130:131], v[84:85], v[138:139]
	v_fma_f64 v[60:61], v[60:61], s[16:17], -v[64:65]
	v_add_f64 v[138:139], v[62:63], v[58:59]
	v_add_f64 v[58:59], v[22:23], v[174:175]
	;; [unrolled: 1-line block ×24, first 2 shown]
	v_add_f64 v[60:61], v[172:173], -v[176:177]
	v_add_f64 v[62:63], v[174:175], -v[178:179]
	v_mul_f64 v[84:85], v[58:59], s[2:3]
	v_mul_f64 v[96:97], v[58:59], s[10:11]
	;; [unrolled: 1-line block ×5, first 2 shown]
	v_add_f64 v[48:49], v[48:49], v[98:99]
	v_mul_f64 v[64:65], v[62:63], s[8:9]
	v_fma_f64 v[86:87], s[26:27], v[60:61], v[84:85]
	v_fmac_f64_e32 v[84:85], s[8:9], v[60:61]
	v_mul_f64 v[88:89], v[62:63], s[14:15]
	v_fma_f64 v[98:99], s[34:35], v[60:61], v[96:97]
	v_fmac_f64_e32 v[96:97], s[14:15], v[60:61]
	v_mul_f64 v[172:173], v[62:63], s[18:19]
	v_fma_f64 v[178:179], s[30:31], v[60:61], v[176:177]
	v_fmac_f64_e32 v[176:177], s[18:19], v[60:61]
	v_mul_f64 v[180:181], v[62:63], s[22:23]
	v_fma_f64 v[186:187], s[38:39], v[60:61], v[184:185]
	v_fmac_f64_e32 v[184:185], s[22:23], v[60:61]
	v_mul_f64 v[62:63], v[62:63], s[28:29]
	v_fma_f64 v[190:191], s[36:37], v[60:61], v[58:59]
	v_fmac_f64_e32 v[58:59], s[28:29], v[60:61]
	v_add_f64 v[46:47], v[46:47], v[90:91]
	v_add_f64 v[134:135], v[66:67], v[134:135]
	v_fma_f64 v[66:67], s[2:3], v[56:57], v[64:65]
	v_add_f64 v[86:87], v[22:23], v[86:87]
	v_fma_f64 v[64:65], v[56:57], s[2:3], -v[64:65]
	v_add_f64 v[84:85], v[22:23], v[84:85]
	v_fma_f64 v[90:91], s[10:11], v[56:57], v[88:89]
	v_add_f64 v[98:99], v[22:23], v[98:99]
	v_fma_f64 v[88:89], v[56:57], s[10:11], -v[88:89]
	;; [unrolled: 4-line block ×5, first 2 shown]
	v_add_f64 v[22:23], v[22:23], v[58:59]
	v_add_f64 v[58:59], v[54:55], v[170:171]
	v_add_f64 v[54:55], v[54:55], -v[170:171]
	v_add_f64 v[66:67], v[20:21], v[66:67]
	v_add_f64 v[64:65], v[20:21], v[64:65]
	;; [unrolled: 1-line block ×11, first 2 shown]
	v_mul_f64 v[60:61], v[54:55], s[14:15]
	v_fma_f64 v[62:63], s[10:11], v[56:57], v[60:61]
	v_add_f64 v[52:53], v[52:53], -v[168:169]
	v_add_f64 v[62:63], v[62:63], v[66:67]
	v_mul_f64 v[66:67], v[58:59], s[10:11]
	v_fma_f64 v[168:169], s[34:35], v[52:53], v[66:67]
	v_fma_f64 v[60:61], v[56:57], s[10:11], -v[60:61]
	v_fmac_f64_e32 v[66:67], s[14:15], v[52:53]
	v_add_f64 v[60:61], v[60:61], v[64:65]
	v_add_f64 v[64:65], v[66:67], v[84:85]
	v_mul_f64 v[66:67], v[54:55], s[22:23]
	v_fma_f64 v[84:85], s[20:21], v[56:57], v[66:67]
	v_add_f64 v[84:85], v[84:85], v[90:91]
	v_mul_f64 v[90:91], v[58:59], s[20:21]
	v_add_f64 v[86:87], v[168:169], v[86:87]
	v_fma_f64 v[168:169], s[38:39], v[52:53], v[90:91]
	v_fma_f64 v[66:67], v[56:57], s[20:21], -v[66:67]
	v_fmac_f64_e32 v[90:91], s[22:23], v[52:53]
	v_add_f64 v[66:67], v[66:67], v[88:89]
	v_add_f64 v[88:89], v[90:91], v[96:97]
	v_mul_f64 v[90:91], v[54:55], s[36:37]
	v_add_f64 v[98:99], v[168:169], v[98:99]
	v_fma_f64 v[96:97], s[24:25], v[56:57], v[90:91]
	v_mul_f64 v[168:169], v[58:59], s[24:25]
	v_fma_f64 v[90:91], v[56:57], s[24:25], -v[90:91]
	v_fma_f64 v[170:171], s[28:29], v[52:53], v[168:169]
	v_add_f64 v[90:91], v[90:91], v[172:173]
	v_fmac_f64_e32 v[168:169], s[36:37], v[52:53]
	v_mul_f64 v[172:173], v[54:55], s[30:31]
	v_add_f64 v[96:97], v[96:97], v[174:175]
	v_add_f64 v[168:169], v[168:169], v[176:177]
	v_fma_f64 v[174:175], s[16:17], v[56:57], v[172:173]
	v_mul_f64 v[176:177], v[58:59], s[16:17]
	v_mul_f64 v[58:59], v[58:59], s[2:3]
	v_add_f64 v[174:175], v[174:175], v[182:183]
	v_fma_f64 v[182:183], s[8:9], v[52:53], v[58:59]
	v_fmac_f64_e32 v[58:59], s[26:27], v[52:53]
	v_fma_f64 v[172:173], v[56:57], s[16:17], -v[172:173]
	v_mul_f64 v[54:55], v[54:55], s[26:27]
	v_add_f64 v[22:23], v[58:59], v[22:23]
	v_add_f64 v[58:59], v[162:163], -v[166:167]
	v_add_f64 v[170:171], v[170:171], v[178:179]
	v_fma_f64 v[178:179], s[18:19], v[52:53], v[176:177]
	v_add_f64 v[172:173], v[172:173], v[180:181]
	v_fmac_f64_e32 v[176:177], s[30:31], v[52:53]
	v_fma_f64 v[180:181], s[2:3], v[56:57], v[54:55]
	v_fma_f64 v[54:55], v[56:57], s[2:3], -v[54:55]
	v_add_f64 v[52:53], v[160:161], v[164:165]
	v_add_f64 v[56:57], v[160:161], -v[164:165]
	v_mul_f64 v[160:161], v[58:59], s[18:19]
	v_add_f64 v[20:21], v[54:55], v[20:21]
	v_add_f64 v[54:55], v[162:163], v[166:167]
	v_fma_f64 v[162:163], s[16:17], v[52:53], v[160:161]
	v_add_f64 v[62:63], v[162:163], v[62:63]
	v_mul_f64 v[162:163], v[54:55], s[16:17]
	v_fma_f64 v[160:161], v[52:53], s[16:17], -v[160:161]
	v_fma_f64 v[164:165], s[30:31], v[56:57], v[162:163]
	v_add_f64 v[60:61], v[160:161], v[60:61]
	v_fmac_f64_e32 v[162:163], s[18:19], v[56:57]
	v_mul_f64 v[160:161], v[58:59], s[36:37]
	v_add_f64 v[64:65], v[162:163], v[64:65]
	v_fma_f64 v[162:163], s[24:25], v[52:53], v[160:161]
	v_add_f64 v[84:85], v[162:163], v[84:85]
	v_mul_f64 v[162:163], v[54:55], s[24:25]
	v_fma_f64 v[160:161], v[52:53], s[24:25], -v[160:161]
	v_add_f64 v[86:87], v[164:165], v[86:87]
	v_fma_f64 v[164:165], s[28:29], v[56:57], v[162:163]
	v_add_f64 v[66:67], v[160:161], v[66:67]
	v_fmac_f64_e32 v[162:163], s[36:37], v[56:57]
	v_mul_f64 v[160:161], v[58:59], s[34:35]
	v_add_f64 v[88:89], v[162:163], v[88:89]
	v_fma_f64 v[162:163], s[10:11], v[52:53], v[160:161]
	v_add_f64 v[96:97], v[162:163], v[96:97]
	v_mul_f64 v[162:163], v[54:55], s[10:11]
	v_add_f64 v[98:99], v[164:165], v[98:99]
	v_fma_f64 v[164:165], s[14:15], v[56:57], v[162:163]
	v_fma_f64 v[160:161], v[52:53], s[10:11], -v[160:161]
	v_fmac_f64_e32 v[162:163], s[34:35], v[56:57]
	v_add_f64 v[90:91], v[160:161], v[90:91]
	v_add_f64 v[160:161], v[162:163], v[168:169]
	v_mul_f64 v[162:163], v[58:59], s[8:9]
	v_fma_f64 v[166:167], s[2:3], v[52:53], v[162:163]
	v_fma_f64 v[162:163], v[52:53], s[2:3], -v[162:163]
	v_mul_f64 v[58:59], v[58:59], s[22:23]
	v_mul_f64 v[168:169], v[54:55], s[2:3]
	v_add_f64 v[162:163], v[162:163], v[172:173]
	v_fma_f64 v[172:173], s[20:21], v[52:53], v[58:59]
	v_mul_f64 v[54:55], v[54:55], s[20:21]
	v_fma_f64 v[52:53], v[52:53], s[20:21], -v[58:59]
	v_add_f64 v[58:59], v[154:155], -v[158:159]
	v_add_f64 v[164:165], v[164:165], v[170:171]
	v_add_f64 v[166:167], v[166:167], v[174:175]
	v_fma_f64 v[170:171], s[26:27], v[56:57], v[168:169]
	v_fmac_f64_e32 v[168:169], s[8:9], v[56:57]
	v_fma_f64 v[174:175], s[38:39], v[56:57], v[54:55]
	v_add_f64 v[20:21], v[52:53], v[20:21]
	v_fmac_f64_e32 v[54:55], s[22:23], v[56:57]
	v_add_f64 v[52:53], v[152:153], v[156:157]
	v_add_f64 v[56:57], v[152:153], -v[156:157]
	v_mul_f64 v[152:153], v[58:59], s[22:23]
	v_add_f64 v[22:23], v[54:55], v[22:23]
	v_add_f64 v[54:55], v[154:155], v[158:159]
	v_fma_f64 v[154:155], s[20:21], v[52:53], v[152:153]
	v_add_f64 v[62:63], v[154:155], v[62:63]
	v_mul_f64 v[154:155], v[54:55], s[20:21]
	v_fma_f64 v[152:153], v[52:53], s[20:21], -v[152:153]
	v_fma_f64 v[156:157], s[38:39], v[56:57], v[154:155]
	v_add_f64 v[60:61], v[152:153], v[60:61]
	v_fmac_f64_e32 v[154:155], s[22:23], v[56:57]
	v_mul_f64 v[152:153], v[58:59], s[30:31]
	v_add_f64 v[64:65], v[154:155], v[64:65]
	v_fma_f64 v[154:155], s[16:17], v[52:53], v[152:153]
	v_add_f64 v[84:85], v[154:155], v[84:85]
	v_mul_f64 v[154:155], v[54:55], s[16:17]
	v_fma_f64 v[152:153], v[52:53], s[16:17], -v[152:153]
	v_add_f64 v[86:87], v[156:157], v[86:87]
	v_fma_f64 v[156:157], s[18:19], v[56:57], v[154:155]
	v_add_f64 v[66:67], v[152:153], v[66:67]
	v_fmac_f64_e32 v[154:155], s[30:31], v[56:57]
	v_mul_f64 v[152:153], v[58:59], s[8:9]
	v_add_f64 v[88:89], v[154:155], v[88:89]
	v_fma_f64 v[154:155], s[2:3], v[52:53], v[152:153]
	v_add_f64 v[96:97], v[154:155], v[96:97]
	v_mul_f64 v[154:155], v[54:55], s[2:3]
	v_add_f64 v[98:99], v[156:157], v[98:99]
	v_fma_f64 v[156:157], s[26:27], v[56:57], v[154:155]
	v_fma_f64 v[152:153], v[52:53], s[2:3], -v[152:153]
	v_fmac_f64_e32 v[154:155], s[8:9], v[56:57]
	v_add_f64 v[90:91], v[152:153], v[90:91]
	v_add_f64 v[152:153], v[154:155], v[160:161]
	v_mul_f64 v[154:155], v[58:59], s[28:29]
	v_add_f64 v[180:181], v[180:181], v[188:189]
	v_fma_f64 v[158:159], s[24:25], v[52:53], v[154:155]
	v_fma_f64 v[154:155], v[52:53], s[24:25], -v[154:155]
	v_mul_f64 v[58:59], v[58:59], s[34:35]
	v_add_f64 v[176:177], v[176:177], v[184:185]
	v_add_f64 v[172:173], v[172:173], v[180:181]
	v_mul_f64 v[160:161], v[54:55], s[24:25]
	v_add_f64 v[154:155], v[154:155], v[162:163]
	v_fma_f64 v[162:163], s[10:11], v[52:53], v[58:59]
	v_add_f64 v[168:169], v[168:169], v[176:177]
	v_add_f64 v[156:157], v[156:157], v[164:165]
	v_fma_f64 v[164:165], s[36:37], v[56:57], v[160:161]
	v_fmac_f64_e32 v[160:161], s[28:29], v[56:57]
	v_add_f64 v[162:163], v[162:163], v[172:173]
	v_fma_f64 v[52:53], v[52:53], s[10:11], -v[58:59]
	v_add_f64 v[172:173], v[144:145], v[148:149]
	v_add_f64 v[176:177], v[144:145], -v[148:149]
	v_add_f64 v[144:145], v[146:147], -v[150:151]
	v_add_f64 v[182:183], v[182:183], v[190:191]
	v_add_f64 v[160:161], v[160:161], v[168:169]
	v_mul_f64 v[54:55], v[54:55], s[10:11]
	v_add_f64 v[168:169], v[52:53], v[20:21]
	v_mul_f64 v[52:53], v[144:145], s[28:29]
	v_add_f64 v[178:179], v[178:179], v[186:187]
	v_add_f64 v[174:175], v[174:175], v[182:183]
	;; [unrolled: 1-line block ×3, first 2 shown]
	v_fma_f64 v[166:167], s[14:15], v[56:57], v[54:55]
	v_fma_f64 v[20:21], s[24:25], v[172:173], v[52:53]
	v_fma_f64 v[52:53], v[172:173], s[24:25], -v[52:53]
	v_add_f64 v[170:171], v[170:171], v[178:179]
	v_add_f64 v[166:167], v[166:167], v[174:175]
	v_fmac_f64_e32 v[54:55], s[34:35], v[56:57]
	v_add_f64 v[174:175], v[146:147], v[150:151]
	v_add_f64 v[52:53], v[52:53], v[60:61]
	v_mul_f64 v[60:61], v[144:145], s[26:27]
	v_add_f64 v[164:165], v[164:165], v[170:171]
	v_add_f64 v[170:171], v[54:55], v[22:23]
	v_mul_f64 v[54:55], v[174:175], s[24:25]
	v_fma_f64 v[56:57], s[2:3], v[172:173], v[60:61]
	v_add_f64 v[20:21], v[20:21], v[62:63]
	v_fma_f64 v[22:23], s[36:37], v[176:177], v[54:55]
	v_fmac_f64_e32 v[54:55], s[28:29], v[176:177]
	v_add_f64 v[56:57], v[56:57], v[84:85]
	v_mul_f64 v[62:63], v[174:175], s[2:3]
	v_mul_f64 v[84:85], v[144:145], s[22:23]
	v_add_f64 v[54:55], v[54:55], v[64:65]
	v_fma_f64 v[58:59], s[8:9], v[176:177], v[62:63]
	v_fma_f64 v[64:65], s[20:21], v[172:173], v[84:85]
	v_add_f64 v[28:29], v[28:29], v[192:193]
	v_add_f64 v[30:31], v[30:31], v[194:195]
	;; [unrolled: 1-line block ×4, first 2 shown]
	v_fma_f64 v[60:61], v[172:173], s[2:3], -v[60:61]
	v_fmac_f64_e32 v[62:63], s[26:27], v[176:177]
	v_add_f64 v[64:65], v[64:65], v[96:97]
	v_mul_f64 v[86:87], v[174:175], s[20:21]
	v_fma_f64 v[84:85], v[172:173], s[20:21], -v[84:85]
	v_mul_f64 v[96:97], v[144:145], s[34:35]
	v_mul_f64 v[98:99], v[174:175], s[10:11]
	;; [unrolled: 1-line block ×4, first 2 shown]
	v_add_f64 v[28:29], v[28:29], v[204:205]
	v_add_f64 v[30:31], v[30:31], v[206:207]
	;; [unrolled: 1-line block ×4, first 2 shown]
	v_fma_f64 v[66:67], s[38:39], v[176:177], v[86:87]
	v_add_f64 v[84:85], v[84:85], v[90:91]
	v_fmac_f64_e32 v[86:87], s[22:23], v[176:177]
	v_fma_f64 v[88:89], s[10:11], v[172:173], v[96:97]
	v_fma_f64 v[90:91], s[14:15], v[176:177], v[98:99]
	v_fma_f64 v[96:97], v[172:173], s[10:11], -v[96:97]
	v_fmac_f64_e32 v[98:99], s[34:35], v[176:177]
	v_fma_f64 v[144:145], s[16:17], v[172:173], v[148:149]
	v_fma_f64 v[146:147], s[30:31], v[176:177], v[150:151]
	v_fma_f64 v[148:149], v[172:173], s[16:17], -v[148:149]
	v_fmac_f64_e32 v[150:151], s[18:19], v[176:177]
	v_add_f64 v[66:67], v[66:67], v[156:157]
	v_add_f64 v[86:87], v[86:87], v[152:153]
	;; [unrolled: 1-line block ×10, first 2 shown]
	ds_write_b128 v197, v[28:31]
	ds_write_b128 v197, v[40:43] offset:112
	ds_write_b128 v197, v[72:75] offset:224
	ds_write_b128 v197, v[76:79] offset:336
	ds_write_b128 v197, v[92:95] offset:448
	ds_write_b128 v197, v[100:103] offset:560
	ds_write_b128 v197, v[104:107] offset:672
	ds_write_b128 v197, v[80:83] offset:784
	ds_write_b128 v197, v[68:71] offset:896
	ds_write_b128 v197, v[36:39] offset:1008
	ds_write_b128 v197, v[32:35] offset:1120
	ds_write_b128 v216, v[108:111]
	ds_write_b128 v216, v[44:47] offset:112
	ds_write_b128 v216, v[116:119] offset:224
	ds_write_b128 v216, v[120:123] offset:336
	ds_write_b128 v216, v[128:131] offset:448
	ds_write_b128 v216, v[132:135] offset:560
	ds_write_b128 v216, v[136:139] offset:672
	ds_write_b128 v216, v[124:127] offset:784
	ds_write_b128 v216, v[48:51] offset:896
	ds_write_b128 v216, v[112:115] offset:1008
	ds_write_b128 v216, v[24:27] offset:1120
	;; [unrolled: 11-line block ×3, first 2 shown]
	s_and_saveexec_b64 s[38:39], s[0:1]
	s_cbranch_execz .LBB0_9
; %bb.8:
	buffer_load_dword v28, off, s[44:47], 0 offset:988 ; 4-byte Folded Reload
	buffer_load_dword v29, off, s[44:47], 0 offset:992 ; 4-byte Folded Reload
	;; [unrolled: 1-line block ×8, first 2 shown]
	v_accvgpr_read_b32 v36, a98
	v_accvgpr_read_b32 v37, a99
	;; [unrolled: 1-line block ×36, first 2 shown]
	s_waitcnt vmcnt(4)
	v_mul_f64 v[32:33], v[30:31], v[38:39]
	v_mul_f64 v[22:23], v[30:31], v[36:37]
	v_fmac_f64_e32 v[32:33], v[28:29], v[36:37]
	s_waitcnt vmcnt(0)
	v_mul_f64 v[34:35], v[26:27], v[44:45]
	v_fma_f64 v[40:41], v[28:29], v[38:39], -v[22:23]
	v_mul_f64 v[22:23], v[26:27], v[42:43]
	buffer_load_dword v28, off, s[44:47], 0 offset:924 ; 4-byte Folded Reload
	buffer_load_dword v29, off, s[44:47], 0 offset:928 ; 4-byte Folded Reload
	;; [unrolled: 1-line block ×4, first 2 shown]
	v_fmac_f64_e32 v[34:35], v[24:25], v[42:43]
	v_fma_f64 v[42:43], v[24:25], v[44:45], -v[22:23]
	buffer_load_dword v44, off, s[44:47], 0 offset:972 ; 4-byte Folded Reload
	buffer_load_dword v45, off, s[44:47], 0 offset:976 ; 4-byte Folded Reload
	;; [unrolled: 1-line block ×4, first 2 shown]
	v_add_f64 v[78:79], v[32:33], -v[34:35]
	v_mul_f64 v[20:21], v[78:79], s[18:19]
	v_add_f64 v[62:63], v[40:41], v[42:43]
	v_fma_f64 v[22:23], s[16:17], v[62:63], v[20:21]
	v_add_f64 v[102:103], v[40:41], -v[42:43]
	v_fma_f64 v[20:21], v[62:63], s[16:17], -v[20:21]
	s_waitcnt vmcnt(4)
	v_mul_f64 v[26:27], v[30:31], v[48:49]
	v_mul_f64 v[36:37], v[30:31], v[50:51]
	v_fma_f64 v[50:51], v[28:29], v[50:51], -v[26:27]
	s_waitcnt vmcnt(0)
	v_mul_f64 v[38:39], v[46:47], v[54:55]
	v_mul_f64 v[26:27], v[46:47], v[52:53]
	v_fmac_f64_e32 v[36:37], v[28:29], v[48:49]
	v_fmac_f64_e32 v[38:39], v[44:45], v[52:53]
	v_fma_f64 v[48:49], v[44:45], v[54:55], -v[26:27]
	buffer_load_dword v52, off, s[44:47], 0 offset:908 ; 4-byte Folded Reload
	buffer_load_dword v53, off, s[44:47], 0 offset:912 ; 4-byte Folded Reload
	;; [unrolled: 1-line block ×8, first 2 shown]
	v_add_f64 v[82:83], v[36:37], -v[38:39]
	v_mul_f64 v[24:25], v[82:83], s[34:35]
	v_add_f64 v[70:71], v[50:51], v[48:49]
	v_fma_f64 v[26:27], s[10:11], v[70:71], v[24:25]
	v_add_f64 v[104:105], v[50:51], -v[48:49]
	s_waitcnt vmcnt(4)
	v_mul_f64 v[30:31], v[54:55], v[56:57]
	v_mul_f64 v[46:47], v[54:55], v[58:59]
	s_waitcnt vmcnt(0)
	v_mul_f64 v[44:45], v[66:67], v[74:75]
	v_fma_f64 v[58:59], v[52:53], v[58:59], -v[30:31]
	v_mul_f64 v[30:31], v[66:67], v[72:73]
	v_fmac_f64_e32 v[46:47], v[52:53], v[56:57]
	v_fmac_f64_e32 v[44:45], v[64:65], v[72:73]
	v_fma_f64 v[56:57], v[64:65], v[74:75], -v[30:31]
	buffer_load_dword v64, off, s[44:47], 0 offset:892 ; 4-byte Folded Reload
	buffer_load_dword v65, off, s[44:47], 0 offset:896 ; 4-byte Folded Reload
	;; [unrolled: 1-line block ×8, first 2 shown]
	v_add_f64 v[84:85], v[46:47], -v[44:45]
	v_mul_f64 v[28:29], v[84:85], s[22:23]
	v_add_f64 v[76:77], v[58:59], v[56:57]
	v_fma_f64 v[30:31], s[20:21], v[76:77], v[28:29]
	v_add_f64 v[106:107], v[58:59], -v[56:57]
	v_mul_f64 v[112:113], v[106:107], s[22:23]
	s_waitcnt vmcnt(4)
	v_mul_f64 v[60:61], v[66:67], v[86:87]
	s_waitcnt vmcnt(0)
	v_mul_f64 v[52:53], v[74:75], v[92:93]
	v_fma_f64 v[68:69], v[64:65], v[88:89], -v[60:61]
	v_mul_f64 v[60:61], v[74:75], v[90:91]
	v_mul_f64 v[54:55], v[66:67], v[88:89]
	v_fmac_f64_e32 v[52:53], v[72:73], v[90:91]
	v_fma_f64 v[66:67], v[72:73], v[92:93], -v[60:61]
	buffer_load_dword v72, off, s[44:47], 0 offset:876 ; 4-byte Folded Reload
	buffer_load_dword v73, off, s[44:47], 0 offset:880 ; 4-byte Folded Reload
	;; [unrolled: 1-line block ×8, first 2 shown]
	v_fmac_f64_e32 v[54:55], v[64:65], v[86:87]
	v_add_f64 v[98:99], v[54:55], -v[52:53]
	v_mul_f64 v[108:109], v[98:99], s[26:27]
	v_add_f64 v[80:81], v[68:69], v[66:67]
	v_fma_f64 v[88:89], s[2:3], v[80:81], v[108:109]
	v_add_f64 v[124:125], v[68:69], -v[66:67]
	v_mul_f64 v[116:117], v[124:125], s[26:27]
	v_mul_f64 v[128:129], v[124:125], s[30:31]
	;; [unrolled: 1-line block ×5, first 2 shown]
	s_waitcnt vmcnt(4)
	v_mul_f64 v[64:65], v[74:75], v[18:19]
	v_fmac_f64_e32 v[64:65], v[72:73], v[16:17]
	s_waitcnt vmcnt(0)
	v_mul_f64 v[60:61], v[92:93], v[96:97]
	v_mul_f64 v[16:17], v[74:75], v[16:17]
	v_fmac_f64_e32 v[60:61], v[90:91], v[94:95]
	v_fma_f64 v[74:75], v[72:73], v[18:19], -v[16:17]
	v_mul_f64 v[16:17], v[92:93], v[94:95]
	v_add_f64 v[100:101], v[64:65], -v[60:61]
	v_fma_f64 v[72:73], v[90:91], v[96:97], -v[16:17]
	v_mul_f64 v[110:111], v[100:101], s[28:29]
	v_add_f64 v[86:87], v[74:75], v[72:73]
	v_fma_f64 v[16:17], s[24:25], v[86:87], v[110:111]
	v_add_f64 v[126:127], v[74:75], -v[72:73]
	v_add_f64 v[16:17], v[14:15], v[16:17]
	v_add_f64 v[96:97], v[64:65], v[60:61]
	v_mul_f64 v[120:121], v[126:127], s[28:29]
	v_add_f64 v[16:17], v[88:89], v[16:17]
	v_add_f64 v[94:95], v[54:55], v[52:53]
	v_fma_f64 v[122:123], v[96:97], s[24:25], -v[120:121]
	v_add_f64 v[16:17], v[30:31], v[16:17]
	v_add_f64 v[92:93], v[46:47], v[44:45]
	v_fma_f64 v[118:119], v[94:95], s[2:3], -v[116:117]
	v_add_f64 v[122:123], v[12:13], v[122:123]
	v_add_f64 v[16:17], v[26:27], v[16:17]
	;; [unrolled: 1-line block ×3, first 2 shown]
	v_mul_f64 v[30:31], v[104:105], s[34:35]
	v_fma_f64 v[114:115], v[92:93], s[20:21], -v[112:113]
	v_add_f64 v[118:119], v[118:119], v[122:123]
	v_add_f64 v[18:19], v[22:23], v[16:17]
	;; [unrolled: 1-line block ×3, first 2 shown]
	v_mul_f64 v[26:27], v[102:103], s[18:19]
	v_fma_f64 v[22:23], v[90:91], s[10:11], -v[30:31]
	v_add_f64 v[114:115], v[114:115], v[118:119]
	v_fma_f64 v[16:17], v[88:89], s[16:17], -v[26:27]
	v_add_f64 v[22:23], v[22:23], v[114:115]
	v_add_f64 v[16:17], v[16:17], v[22:23]
	v_fma_f64 v[22:23], v[70:71], s[10:11], -v[24:25]
	v_fma_f64 v[24:25], v[76:77], s[20:21], -v[28:29]
	v_fma_f64 v[28:29], v[80:81], s[2:3], -v[108:109]
	v_fma_f64 v[108:109], v[86:87], s[24:25], -v[110:111]
	v_add_f64 v[108:109], v[14:15], v[108:109]
	v_add_f64 v[28:29], v[28:29], v[108:109]
	;; [unrolled: 1-line block ×4, first 2 shown]
	v_fmac_f64_e32 v[120:121], s[24:25], v[96:97]
	v_add_f64 v[22:23], v[20:21], v[22:23]
	v_fmac_f64_e32 v[116:117], s[2:3], v[94:95]
	v_add_f64 v[20:21], v[12:13], v[120:121]
	;; [unrolled: 2-line block ×3, first 2 shown]
	v_mul_f64 v[116:117], v[100:101], s[22:23]
	v_add_f64 v[20:21], v[112:113], v[20:21]
	v_mul_f64 v[112:113], v[98:99], s[30:31]
	v_fma_f64 v[118:119], s[20:21], v[86:87], v[116:117]
	v_fma_f64 v[116:117], v[86:87], s[20:21], -v[116:117]
	v_fmac_f64_e32 v[30:31], s[10:11], v[90:91]
	v_mul_f64 v[108:109], v[84:85], s[8:9]
	v_fma_f64 v[114:115], s[16:17], v[80:81], v[112:113]
	v_fma_f64 v[112:113], v[80:81], s[16:17], -v[112:113]
	v_add_f64 v[116:117], v[14:15], v[116:117]
	v_fmac_f64_e32 v[26:27], s[16:17], v[88:89]
	v_add_f64 v[20:21], v[30:31], v[20:21]
	v_mul_f64 v[30:31], v[82:83], s[28:29]
	v_fma_f64 v[110:111], s[2:3], v[76:77], v[108:109]
	v_fma_f64 v[108:109], v[76:77], s[2:3], -v[108:109]
	v_add_f64 v[112:113], v[112:113], v[116:117]
	v_add_f64 v[20:21], v[26:27], v[20:21]
	v_mul_f64 v[28:29], v[78:79], s[34:35]
	v_fma_f64 v[26:27], s[24:25], v[70:71], v[30:31]
	v_mul_f64 v[132:133], v[126:127], s[22:23]
	v_fma_f64 v[30:31], v[70:71], s[24:25], -v[30:31]
	v_add_f64 v[108:109], v[108:109], v[112:113]
	v_fma_f64 v[24:25], s[10:11], v[62:63], v[28:29]
	v_add_f64 v[118:119], v[14:15], v[118:119]
	v_fma_f64 v[134:135], v[96:97], s[20:21], -v[132:133]
	v_fma_f64 v[28:29], v[62:63], s[10:11], -v[28:29]
	v_add_f64 v[30:31], v[30:31], v[108:109]
	v_fmac_f64_e32 v[132:133], s[20:21], v[96:97]
	v_add_f64 v[114:115], v[114:115], v[118:119]
	v_mul_f64 v[120:121], v[106:107], s[8:9]
	v_fma_f64 v[130:131], v[94:95], s[16:17], -v[128:129]
	v_add_f64 v[134:135], v[12:13], v[134:135]
	v_add_f64 v[30:31], v[28:29], v[30:31]
	v_fmac_f64_e32 v[128:129], s[16:17], v[94:95]
	v_add_f64 v[28:29], v[12:13], v[132:133]
	v_add_f64 v[110:111], v[110:111], v[114:115]
	v_mul_f64 v[114:115], v[104:105], s[28:29]
	v_fma_f64 v[122:123], v[92:93], s[2:3], -v[120:121]
	v_add_f64 v[130:131], v[130:131], v[134:135]
	v_fmac_f64_e32 v[120:121], s[2:3], v[92:93]
	v_add_f64 v[28:29], v[128:129], v[28:29]
	v_mul_f64 v[128:129], v[100:101], s[18:19]
	v_add_f64 v[26:27], v[26:27], v[110:111]
	v_mul_f64 v[110:111], v[102:103], s[34:35]
	v_fma_f64 v[118:119], v[90:91], s[24:25], -v[114:115]
	v_add_f64 v[122:123], v[122:123], v[130:131]
	v_add_f64 v[28:29], v[120:121], v[28:29]
	v_mul_f64 v[120:121], v[98:99], s[36:37]
	v_fma_f64 v[130:131], s[16:17], v[86:87], v[128:129]
	v_fma_f64 v[128:129], v[86:87], s[16:17], -v[128:129]
	v_add_f64 v[26:27], v[24:25], v[26:27]
	v_fma_f64 v[24:25], v[88:89], s[10:11], -v[110:111]
	v_add_f64 v[118:119], v[118:119], v[122:123]
	v_fmac_f64_e32 v[114:115], s[24:25], v[90:91]
	v_mul_f64 v[116:117], v[84:85], s[34:35]
	v_fma_f64 v[122:123], s[24:25], v[80:81], v[120:121]
	v_fma_f64 v[120:121], v[80:81], s[24:25], -v[120:121]
	v_add_f64 v[128:129], v[14:15], v[128:129]
	v_add_f64 v[24:25], v[24:25], v[118:119]
	v_fmac_f64_e32 v[110:111], s[10:11], v[88:89]
	v_add_f64 v[28:29], v[114:115], v[28:29]
	v_mul_f64 v[114:115], v[82:83], s[8:9]
	v_fma_f64 v[118:119], s[10:11], v[76:77], v[116:117]
	v_fma_f64 v[116:117], v[76:77], s[10:11], -v[116:117]
	v_add_f64 v[120:121], v[120:121], v[128:129]
	v_add_f64 v[28:29], v[110:111], v[28:29]
	v_mul_f64 v[112:113], v[78:79], s[22:23]
	v_fma_f64 v[110:111], s[2:3], v[70:71], v[114:115]
	v_mul_f64 v[140:141], v[126:127], s[18:19]
	v_fma_f64 v[114:115], v[70:71], s[2:3], -v[114:115]
	v_add_f64 v[116:117], v[116:117], v[120:121]
	v_fma_f64 v[108:109], s[20:21], v[62:63], v[112:113]
	v_add_f64 v[130:131], v[14:15], v[130:131]
	v_fma_f64 v[142:143], v[96:97], s[16:17], -v[140:141]
	v_fma_f64 v[112:113], v[62:63], s[20:21], -v[112:113]
	v_add_f64 v[114:115], v[114:115], v[116:117]
	v_fmac_f64_e32 v[140:141], s[16:17], v[96:97]
	v_add_f64 v[122:123], v[122:123], v[130:131]
	v_mul_f64 v[132:133], v[106:107], s[34:35]
	v_fma_f64 v[138:139], v[94:95], s[24:25], -v[136:137]
	v_add_f64 v[142:143], v[12:13], v[142:143]
	v_add_f64 v[114:115], v[112:113], v[114:115]
	v_fmac_f64_e32 v[136:137], s[24:25], v[94:95]
	v_add_f64 v[112:113], v[12:13], v[140:141]
	v_add_f64 v[118:119], v[118:119], v[122:123]
	v_mul_f64 v[122:123], v[104:105], s[8:9]
	v_fma_f64 v[134:135], v[92:93], s[10:11], -v[132:133]
	v_add_f64 v[138:139], v[138:139], v[142:143]
	v_fmac_f64_e32 v[132:133], s[10:11], v[92:93]
	v_add_f64 v[112:113], v[136:137], v[112:113]
	v_mul_f64 v[136:137], v[100:101], s[14:15]
	v_add_f64 v[110:111], v[110:111], v[118:119]
	v_mul_f64 v[118:119], v[102:103], s[22:23]
	v_fma_f64 v[130:131], v[90:91], s[2:3], -v[122:123]
	v_add_f64 v[134:135], v[134:135], v[138:139]
	v_add_f64 v[112:113], v[132:133], v[112:113]
	v_mul_f64 v[132:133], v[98:99], s[22:23]
	v_fma_f64 v[138:139], s[10:11], v[86:87], v[136:137]
	v_fma_f64 v[136:137], v[86:87], s[10:11], -v[136:137]
	v_add_f64 v[110:111], v[108:109], v[110:111]
	v_fma_f64 v[108:109], v[88:89], s[20:21], -v[118:119]
	v_add_f64 v[130:131], v[130:131], v[134:135]
	v_fmac_f64_e32 v[122:123], s[2:3], v[90:91]
	v_mul_f64 v[128:129], v[84:85], s[36:37]
	v_fma_f64 v[134:135], s[20:21], v[80:81], v[132:133]
	v_fma_f64 v[132:133], v[80:81], s[20:21], -v[132:133]
	v_add_f64 v[136:137], v[14:15], v[136:137]
	v_add_f64 v[108:109], v[108:109], v[130:131]
	v_fmac_f64_e32 v[118:119], s[20:21], v[88:89]
	v_add_f64 v[112:113], v[122:123], v[112:113]
	v_mul_f64 v[122:123], v[82:83], s[30:31]
	v_fma_f64 v[130:131], s[24:25], v[76:77], v[128:129]
	v_fma_f64 v[128:129], v[76:77], s[24:25], -v[128:129]
	v_add_f64 v[132:133], v[132:133], v[136:137]
	v_add_f64 v[112:113], v[118:119], v[112:113]
	v_mul_f64 v[120:121], v[78:79], s[26:27]
	v_fma_f64 v[118:119], s[16:17], v[70:71], v[122:123]
	v_mul_f64 v[148:149], v[126:127], s[14:15]
	v_fma_f64 v[122:123], v[70:71], s[16:17], -v[122:123]
	v_add_f64 v[128:129], v[128:129], v[132:133]
	v_fma_f64 v[116:117], s[2:3], v[62:63], v[120:121]
	v_add_f64 v[138:139], v[14:15], v[138:139]
	v_fma_f64 v[150:151], v[96:97], s[10:11], -v[148:149]
	v_fma_f64 v[120:121], v[62:63], s[2:3], -v[120:121]
	v_add_f64 v[122:123], v[122:123], v[128:129]
	v_fmac_f64_e32 v[148:149], s[10:11], v[96:97]
	v_add_f64 v[134:135], v[134:135], v[138:139]
	v_mul_f64 v[140:141], v[106:107], s[36:37]
	v_fma_f64 v[146:147], v[94:95], s[20:21], -v[144:145]
	v_add_f64 v[122:123], v[120:121], v[122:123]
	v_fmac_f64_e32 v[144:145], s[20:21], v[94:95]
	v_add_f64 v[120:121], v[12:13], v[148:149]
	v_add_f64 v[130:131], v[130:131], v[134:135]
	v_mul_f64 v[134:135], v[104:105], s[30:31]
	v_fma_f64 v[142:143], v[92:93], s[24:25], -v[140:141]
	v_fmac_f64_e32 v[140:141], s[24:25], v[92:93]
	v_add_f64 v[120:121], v[144:145], v[120:121]
	v_fma_f64 v[138:139], v[90:91], s[16:17], -v[134:135]
	v_fmac_f64_e32 v[134:135], s[16:17], v[90:91]
	v_add_f64 v[120:121], v[140:141], v[120:121]
	v_mul_f64 v[78:79], v[78:79], s[28:29]
	v_mul_f64 v[98:99], v[98:99], s[14:15]
	;; [unrolled: 1-line block ×3, first 2 shown]
	v_add_f64 v[118:119], v[118:119], v[130:131]
	v_mul_f64 v[130:131], v[102:103], s[26:27]
	v_add_f64 v[150:151], v[12:13], v[150:151]
	v_add_f64 v[120:121], v[134:135], v[120:121]
	v_fma_f64 v[128:129], s[24:25], v[62:63], v[78:79]
	v_fma_f64 v[134:135], s[10:11], v[80:81], v[98:99]
	v_fma_f64 v[62:63], v[62:63], s[24:25], -v[78:79]
	v_fma_f64 v[78:79], v[80:81], s[10:11], -v[98:99]
	;; [unrolled: 1-line block ×3, first 2 shown]
	v_add_f64 v[118:119], v[116:117], v[118:119]
	v_fma_f64 v[116:117], v[88:89], s[2:3], -v[130:131]
	v_add_f64 v[146:147], v[146:147], v[150:151]
	v_fmac_f64_e32 v[130:131], s[2:3], v[88:89]
	v_mul_f64 v[132:133], v[84:85], s[18:19]
	v_add_f64 v[80:81], v[14:15], v[80:81]
	v_add_f64 v[142:143], v[142:143], v[146:147]
	;; [unrolled: 1-line block ×3, first 2 shown]
	v_mul_f64 v[130:131], v[82:83], s[22:23]
	v_fma_f64 v[84:85], s[16:17], v[76:77], v[132:133]
	v_fma_f64 v[76:77], v[76:77], s[16:17], -v[132:133]
	v_add_f64 v[78:79], v[78:79], v[80:81]
	v_add_f64 v[138:139], v[138:139], v[142:143]
	v_fma_f64 v[82:83], s[20:21], v[70:71], v[130:131]
	v_mul_f64 v[126:127], v[126:127], s[8:9]
	v_fma_f64 v[70:71], v[70:71], s[20:21], -v[130:131]
	v_add_f64 v[76:77], v[76:77], v[78:79]
	v_add_f64 v[116:117], v[116:117], v[138:139]
	v_fma_f64 v[138:139], v[96:97], s[2:3], -v[126:127]
	v_add_f64 v[70:71], v[70:71], v[76:77]
	v_fmac_f64_e32 v[126:127], s[2:3], v[96:97]
	v_add_f64 v[138:139], v[12:13], v[138:139]
	v_add_f64 v[78:79], v[62:63], v[70:71]
	;; [unrolled: 1-line block ×8, first 2 shown]
	buffer_load_dword v32, off, s[44:47], 0 offset:96 ; 4-byte Folded Reload
	buffer_load_dword v33, off, s[44:47], 0 offset:212 ; 4-byte Folded Reload
	v_fma_f64 v[136:137], s[2:3], v[86:87], v[100:101]
	v_add_f64 v[136:137], v[14:15], v[136:137]
	v_add_f64 v[14:15], v[14:15], v[74:75]
	;; [unrolled: 1-line block ×10, first 2 shown]
	v_mul_f64 v[106:107], v[106:107], s[18:19]
	v_fma_f64 v[136:137], v[94:95], s[10:11], -v[124:125]
	v_fmac_f64_e32 v[124:125], s[10:11], v[94:95]
	v_add_f64 v[14:15], v[14:15], v[48:49]
	v_add_f64 v[12:13], v[12:13], v[38:39]
	v_add_f64 v[82:83], v[82:83], v[84:85]
	v_mul_f64 v[104:105], v[104:105], s[22:23]
	v_fma_f64 v[134:135], v[92:93], s[16:17], -v[106:107]
	v_add_f64 v[136:137], v[136:137], v[138:139]
	v_fmac_f64_e32 v[106:107], s[16:17], v[92:93]
	v_add_f64 v[62:63], v[124:125], v[62:63]
	v_add_f64 v[14:15], v[14:15], v[56:57]
	;; [unrolled: 1-line block ×4, first 2 shown]
	v_mul_f64 v[102:103], v[102:103], s[28:29]
	v_fma_f64 v[128:129], v[90:91], s[20:21], -v[104:105]
	v_add_f64 v[134:135], v[134:135], v[136:137]
	v_fmac_f64_e32 v[104:105], s[20:21], v[90:91]
	v_add_f64 v[62:63], v[106:107], v[62:63]
	v_add_f64 v[14:15], v[14:15], v[66:67]
	;; [unrolled: 1-line block ×3, first 2 shown]
	v_fma_f64 v[82:83], v[88:89], s[24:25], -v[102:103]
	v_add_f64 v[128:129], v[128:129], v[134:135]
	v_fmac_f64_e32 v[102:103], s[24:25], v[88:89]
	v_add_f64 v[62:63], v[104:105], v[62:63]
	v_add_f64 v[14:15], v[14:15], v[72:73]
	;; [unrolled: 1-line block ×5, first 2 shown]
	s_waitcnt vmcnt(1)
	v_mul_u32_u24_e32 v32, 0x4d, v32
	s_waitcnt vmcnt(0)
	v_add_lshl_u32 v32, v32, v33, 4
	ds_write_b128 v32, v[12:15]
	ds_write_b128 v32, v[76:79] offset:112
	ds_write_b128 v32, v[120:123] offset:224
	;; [unrolled: 1-line block ×10, first 2 shown]
.LBB0_9:
	s_or_b64 exec, exec, s[38:39]
	s_waitcnt lgkmcnt(0)
	; wave barrier
	s_waitcnt lgkmcnt(0)
	ds_read_b128 v[16:19], v196 offset:6160
	ds_read_b128 v[12:15], v196 offset:5280
	v_accvgpr_read_b32 v20, a90
	v_accvgpr_read_b32 v22, a92
	v_accvgpr_read_b32 v23, a93
	v_accvgpr_read_b32 v21, a91
	s_waitcnt lgkmcnt(1)
	v_mul_f64 v[168:169], v[22:23], v[18:19]
	v_fmac_f64_e32 v[168:169], v[20:21], v[16:17]
	v_mul_f64 v[16:17], v[22:23], v[16:17]
	v_fma_f64 v[166:167], v[20:21], v[18:19], -v[16:17]
	ds_read_b128 v[16:19], v196 offset:12320
	ds_read_b128 v[20:23], v196 offset:13200
	v_accvgpr_read_b32 v24, a86
	v_accvgpr_read_b32 v26, a88
	v_accvgpr_read_b32 v27, a89
	v_accvgpr_read_b32 v25, a87
	s_waitcnt lgkmcnt(1)
	v_mul_f64 v[172:173], v[26:27], v[18:19]
	v_fmac_f64_e32 v[172:173], v[24:25], v[16:17]
	v_mul_f64 v[16:17], v[26:27], v[16:17]
	v_fma_f64 v[170:171], v[24:25], v[18:19], -v[16:17]
	;; [unrolled: 11-line block ×5, first 2 shown]
	v_accvgpr_read_b32 v36, a122
	v_accvgpr_read_b32 v38, a124
	v_accvgpr_read_b32 v39, a125
	v_accvgpr_read_b32 v37, a123
	v_mul_f64 v[156:157], v[38:39], v[22:23]
	v_mul_f64 v[16:17], v[38:39], v[20:21]
	v_fmac_f64_e32 v[156:157], v[36:37], v[20:21]
	v_fma_f64 v[154:155], v[36:37], v[22:23], -v[16:17]
	ds_read_b128 v[16:19], v196 offset:19360
	ds_read_b128 v[20:23], v196 offset:20240
	v_accvgpr_read_b32 v36, a118
	v_accvgpr_read_b32 v38, a120
	v_accvgpr_read_b32 v39, a121
	v_accvgpr_read_b32 v37, a119
	s_waitcnt lgkmcnt(1)
	v_mul_f64 v[160:161], v[38:39], v[18:19]
	v_fmac_f64_e32 v[160:161], v[36:37], v[16:17]
	v_mul_f64 v[16:17], v[38:39], v[16:17]
	v_fma_f64 v[158:159], v[36:37], v[18:19], -v[16:17]
	v_accvgpr_read_b32 v36, a114
	v_accvgpr_read_b32 v38, a116
	v_accvgpr_read_b32 v39, a117
	v_accvgpr_read_b32 v37, a115
	v_mul_f64 v[164:165], v[38:39], v[30:31]
	v_mul_f64 v[16:17], v[38:39], v[28:29]
	v_fmac_f64_e32 v[164:165], v[36:37], v[28:29]
	v_fma_f64 v[162:163], v[36:37], v[30:31], -v[16:17]
	v_accvgpr_read_b32 v28, a110
	v_accvgpr_read_b32 v30, a112
	;; [unrolled: 1-line block ×4, first 2 shown]
	v_mul_f64 v[136:137], v[30:31], v[34:35]
	v_mul_f64 v[16:17], v[30:31], v[32:33]
	v_fmac_f64_e32 v[136:137], v[28:29], v[32:33]
	v_fma_f64 v[134:135], v[28:29], v[34:35], -v[16:17]
	ds_read_b128 v[16:19], v196 offset:14080
	ds_read_b128 v[28:31], v196 offset:14960
	v_accvgpr_read_b32 v32, a148
	v_accvgpr_read_b32 v34, a150
	;; [unrolled: 1-line block ×4, first 2 shown]
	s_waitcnt lgkmcnt(1)
	v_mul_f64 v[140:141], v[34:35], v[18:19]
	v_fmac_f64_e32 v[140:141], v[32:33], v[16:17]
	v_mul_f64 v[16:17], v[34:35], v[16:17]
	v_fma_f64 v[138:139], v[32:33], v[18:19], -v[16:17]
	v_accvgpr_read_b32 v32, a134
	v_accvgpr_read_b32 v34, a136
	v_accvgpr_read_b32 v35, a137
	v_accvgpr_read_b32 v33, a135
	v_mul_f64 v[144:145], v[34:35], v[22:23]
	v_mul_f64 v[16:17], v[34:35], v[20:21]
	v_fmac_f64_e32 v[144:145], v[32:33], v[20:21]
	v_fma_f64 v[142:143], v[32:33], v[22:23], -v[16:17]
	ds_read_b128 v[16:19], v196 offset:26400
	ds_read_b128 v[20:23], v196 offset:27280
	v_accvgpr_read_b32 v32, a126
	v_accvgpr_read_b32 v34, a128
	;; [unrolled: 1-line block ×4, first 2 shown]
	s_waitcnt lgkmcnt(1)
	v_mul_f64 v[148:149], v[34:35], v[18:19]
	v_fmac_f64_e32 v[148:149], v[32:33], v[16:17]
	v_mul_f64 v[16:17], v[34:35], v[16:17]
	v_fma_f64 v[146:147], v[32:33], v[18:19], -v[16:17]
	ds_read_b128 v[16:19], v196 offset:8800
	ds_read_b128 v[32:35], v196 offset:9680
	v_accvgpr_read_b32 v36, a152
	v_accvgpr_read_b32 v38, a154
	;; [unrolled: 1-line block ×4, first 2 shown]
	s_waitcnt lgkmcnt(1)
	v_mul_f64 v[120:121], v[38:39], v[18:19]
	v_fmac_f64_e32 v[120:121], v[36:37], v[16:17]
	v_mul_f64 v[16:17], v[38:39], v[16:17]
	v_fma_f64 v[118:119], v[36:37], v[18:19], -v[16:17]
	v_accvgpr_read_b32 v36, a142
	v_accvgpr_read_b32 v38, a144
	;; [unrolled: 1-line block ×4, first 2 shown]
	v_mul_f64 v[124:125], v[38:39], v[30:31]
	v_mul_f64 v[16:17], v[38:39], v[28:29]
	v_fmac_f64_e32 v[124:125], v[36:37], v[28:29]
	v_fma_f64 v[122:123], v[36:37], v[30:31], -v[16:17]
	ds_read_b128 v[16:19], v196 offset:21120
	ds_read_b128 v[28:31], v196 offset:22000
	v_accvgpr_read_b32 v36, a138
	v_accvgpr_read_b32 v38, a140
	;; [unrolled: 1-line block ×4, first 2 shown]
	s_waitcnt lgkmcnt(1)
	v_mul_f64 v[128:129], v[38:39], v[18:19]
	v_fmac_f64_e32 v[128:129], v[36:37], v[16:17]
	v_mul_f64 v[16:17], v[38:39], v[16:17]
	v_fma_f64 v[126:127], v[36:37], v[18:19], -v[16:17]
	v_accvgpr_read_b32 v36, a130
	v_accvgpr_read_b32 v38, a132
	;; [unrolled: 1-line block ×4, first 2 shown]
	v_mul_f64 v[132:133], v[38:39], v[22:23]
	v_fmac_f64_e32 v[132:133], v[36:37], v[20:21]
	v_mul_f64 v[16:17], v[38:39], v[20:21]
	v_accvgpr_read_b32 v18, a164
	v_accvgpr_read_b32 v20, a166
	;; [unrolled: 1-line block ×3, first 2 shown]
	v_fma_f64 v[130:131], v[36:37], v[22:23], -v[16:17]
	v_accvgpr_read_b32 v19, a165
	v_mul_f64 v[104:105], v[20:21], v[34:35]
	v_mul_f64 v[16:17], v[20:21], v[32:33]
	v_fmac_f64_e32 v[104:105], v[18:19], v[32:33]
	v_fma_f64 v[102:103], v[18:19], v[34:35], -v[16:17]
	ds_read_b128 v[16:19], v196 offset:15840
	ds_read_b128 v[20:23], v196 offset:16720
	v_accvgpr_read_b32 v32, a172
	v_accvgpr_read_b32 v34, a174
	;; [unrolled: 1-line block ×4, first 2 shown]
	s_waitcnt lgkmcnt(1)
	v_mul_f64 v[108:109], v[34:35], v[18:19]
	v_fmac_f64_e32 v[108:109], v[32:33], v[16:17]
	v_mul_f64 v[16:17], v[34:35], v[16:17]
	v_fma_f64 v[106:107], v[32:33], v[18:19], -v[16:17]
	v_accvgpr_read_b32 v32, a160
	v_accvgpr_read_b32 v34, a162
	;; [unrolled: 1-line block ×4, first 2 shown]
	v_mul_f64 v[112:113], v[34:35], v[30:31]
	v_mul_f64 v[16:17], v[34:35], v[28:29]
	v_fmac_f64_e32 v[112:113], v[32:33], v[28:29]
	v_fma_f64 v[110:111], v[32:33], v[30:31], -v[16:17]
	ds_read_b128 v[16:19], v196 offset:28160
	ds_read_b128 v[28:31], v196 offset:29040
	v_accvgpr_read_b32 v32, a156
	v_accvgpr_read_b32 v34, a158
	;; [unrolled: 1-line block ×4, first 2 shown]
	s_waitcnt lgkmcnt(1)
	v_mul_f64 v[116:117], v[34:35], v[18:19]
	v_fmac_f64_e32 v[116:117], v[32:33], v[16:17]
	v_mul_f64 v[16:17], v[34:35], v[16:17]
	v_fma_f64 v[114:115], v[32:33], v[18:19], -v[16:17]
	ds_read_b128 v[16:19], v196 offset:10560
	ds_read_b128 v[32:35], v196 offset:11440
	v_accvgpr_read_b32 v36, a184
	v_accvgpr_read_b32 v38, a186
	;; [unrolled: 1-line block ×4, first 2 shown]
	s_waitcnt lgkmcnt(1)
	v_mul_f64 v[76:77], v[38:39], v[18:19]
	v_fmac_f64_e32 v[76:77], v[36:37], v[16:17]
	v_mul_f64 v[16:17], v[38:39], v[16:17]
	v_fma_f64 v[74:75], v[36:37], v[18:19], -v[16:17]
	v_accvgpr_read_b32 v36, a168
	v_accvgpr_read_b32 v38, a170
	;; [unrolled: 1-line block ×4, first 2 shown]
	v_mul_f64 v[80:81], v[38:39], v[22:23]
	v_mul_f64 v[16:17], v[38:39], v[20:21]
	v_fmac_f64_e32 v[80:81], v[36:37], v[20:21]
	v_fma_f64 v[78:79], v[36:37], v[22:23], -v[16:17]
	ds_read_b128 v[16:19], v196 offset:22880
	ds_read_b128 v[20:23], v196 offset:23760
	v_accvgpr_read_b32 v36, a180
	v_accvgpr_read_b32 v38, a182
	;; [unrolled: 1-line block ×4, first 2 shown]
	s_waitcnt lgkmcnt(1)
	v_mul_f64 v[92:93], v[38:39], v[18:19]
	v_fmac_f64_e32 v[92:93], v[36:37], v[16:17]
	v_mul_f64 v[16:17], v[38:39], v[16:17]
	v_fma_f64 v[82:83], v[36:37], v[18:19], -v[16:17]
	v_accvgpr_read_b32 v36, a176
	v_accvgpr_read_b32 v38, a178
	v_accvgpr_read_b32 v39, a179
	v_accvgpr_read_b32 v37, a177
	v_mul_f64 v[100:101], v[38:39], v[30:31]
	v_mul_f64 v[16:17], v[38:39], v[28:29]
	v_fmac_f64_e32 v[100:101], v[36:37], v[28:29]
	v_fma_f64 v[94:95], v[36:37], v[30:31], -v[16:17]
	v_accvgpr_read_b32 v28, a192
	v_accvgpr_read_b32 v30, a194
	v_accvgpr_read_b32 v31, a195
	v_accvgpr_read_b32 v29, a193
	v_mul_f64 v[46:47], v[30:31], v[34:35]
	v_mul_f64 v[16:17], v[30:31], v[32:33]
	v_fmac_f64_e32 v[46:47], v[28:29], v[32:33]
	;; [unrolled: 8-line block ×3, first 2 shown]
	v_fma_f64 v[48:49], v[28:29], v[26:27], -v[16:17]
	v_accvgpr_read_b32 v24, a210
	v_accvgpr_read_b32 v26, a212
	;; [unrolled: 1-line block ×4, first 2 shown]
	s_waitcnt lgkmcnt(0)
	v_mul_f64 v[16:17], v[26:27], v[20:21]
	v_fma_f64 v[68:69], v[24:25], v[22:23], -v[16:17]
	ds_read_b128 v[16:19], v196 offset:29920
	v_mul_f64 v[70:71], v[26:27], v[22:23]
	v_fmac_f64_e32 v[70:71], v[24:25], v[20:21]
	v_accvgpr_read_b32 v20, a196
	ds_read_b128 v[36:39], v196
	ds_read_b128 v[32:35], v196 offset:880
	v_accvgpr_read_b32 v22, a198
	v_accvgpr_read_b32 v23, a199
	;; [unrolled: 1-line block ×3, first 2 shown]
	s_waitcnt lgkmcnt(2)
	v_mul_f64 v[72:73], v[22:23], v[18:19]
	v_fmac_f64_e32 v[72:73], v[20:21], v[16:17]
	v_mul_f64 v[16:17], v[22:23], v[16:17]
	v_fma_f64 v[52:53], v[20:21], v[18:19], -v[16:17]
	s_waitcnt lgkmcnt(1)
	v_add_f64 v[16:17], v[36:37], v[168:169]
	v_add_f64 v[18:19], v[38:39], v[166:167]
	;; [unrolled: 1-line block ×8, first 2 shown]
	ds_read_b128 v[28:31], v196 offset:1760
	ds_read_b128 v[24:27], v196 offset:2640
	ds_read_b128 v[20:23], v196 offset:3520
	ds_read_b128 v[16:19], v196 offset:4400
	s_waitcnt lgkmcnt(0)
	; wave barrier
	s_waitcnt lgkmcnt(0)
	ds_write_b128 v196, v[40:43]
	v_add_f64 v[40:41], v[168:169], -v[172:173]
	v_add_f64 v[42:43], v[54:55], -v[176:177]
	v_add_f64 v[60:61], v[40:41], v[42:43]
	v_add_f64 v[40:41], v[172:173], v[176:177]
	;; [unrolled: 1-line block ×3, first 2 shown]
	s_mov_b32 s8, 0x134454ff
	v_fma_f64 v[40:41], -0.5, v[40:41], v[36:37]
	v_fma_f64 v[42:43], -0.5, v[42:43], v[38:39]
	v_add_f64 v[56:57], v[166:167], -v[170:171]
	v_add_f64 v[58:59], v[178:179], -v[174:175]
	s_mov_b32 s9, 0xbfee6f0e
	s_mov_b32 s0, 0x4755a5e
	v_add_f64 v[64:65], v[166:167], -v[178:179]
	s_mov_b32 s11, 0x3fee6f0e
	s_mov_b32 s10, s8
	v_add_f64 v[84:85], v[168:169], -v[54:55]
	v_add_f64 v[62:63], v[56:57], v[58:59]
	s_mov_b32 s1, 0xbfe2cf23
	v_add_f64 v[66:67], v[170:171], -v[174:175]
	v_fma_f64 v[56:57], s[8:9], v[64:65], v[40:41]
	s_mov_b32 s2, 0x372fe950
	s_mov_b32 s15, 0x3fe2cf23
	;; [unrolled: 1-line block ×3, first 2 shown]
	v_fma_f64 v[58:59], s[10:11], v[84:85], v[42:43]
	v_add_f64 v[86:87], v[172:173], -v[176:177]
	v_fmac_f64_e32 v[56:57], s[0:1], v[66:67]
	s_mov_b32 s3, 0x3fd3c6ef
	v_fmac_f64_e32 v[58:59], s[14:15], v[86:87]
	v_fmac_f64_e32 v[56:57], s[2:3], v[60:61]
	;; [unrolled: 1-line block ×3, first 2 shown]
	ds_write_b128 v196, v[56:59] offset:1232
	v_add_f64 v[56:57], v[168:169], v[54:55]
	v_fmac_f64_e32 v[36:37], -0.5, v[56:57]
	v_add_f64 v[56:57], v[172:173], -v[168:169]
	v_add_f64 v[54:55], v[176:177], -v[54:55]
	v_add_f64 v[58:59], v[56:57], v[54:55]
	v_add_f64 v[54:55], v[166:167], v[178:179]
	v_fmac_f64_e32 v[38:39], -0.5, v[54:55]
	v_add_f64 v[54:55], v[170:171], -v[166:167]
	v_add_f64 v[56:57], v[174:175], -v[178:179]
	v_add_f64 v[88:89], v[54:55], v[56:57]
	v_fma_f64 v[54:55], s[10:11], v[66:67], v[36:37]
	v_fma_f64 v[56:57], s[8:9], v[86:87], v[38:39]
	v_fmac_f64_e32 v[36:37], s[8:9], v[66:67]
	v_fmac_f64_e32 v[38:39], s[10:11], v[86:87]
	;; [unrolled: 1-line block ×6, first 2 shown]
	ds_write_b128 v196, v[36:39] offset:3696
	v_add_f64 v[36:37], v[32:33], v[152:153]
	v_add_f64 v[38:39], v[34:35], v[150:151]
	v_fmac_f64_e32 v[40:41], s[10:11], v[64:65]
	v_fmac_f64_e32 v[42:43], s[8:9], v[84:85]
	v_add_f64 v[36:37], v[36:37], v[156:157]
	v_add_f64 v[38:39], v[38:39], v[154:155]
	v_fmac_f64_e32 v[54:55], s[0:1], v[64:65]
	v_fmac_f64_e32 v[56:57], s[14:15], v[84:85]
	;; [unrolled: 1-line block ×4, first 2 shown]
	v_add_f64 v[36:37], v[36:37], v[160:161]
	v_add_f64 v[38:39], v[38:39], v[158:159]
	v_fmac_f64_e32 v[54:55], s[2:3], v[58:59]
	v_fmac_f64_e32 v[56:57], s[2:3], v[88:89]
	;; [unrolled: 1-line block ×4, first 2 shown]
	v_add_f64 v[36:37], v[36:37], v[164:165]
	v_add_f64 v[38:39], v[38:39], v[162:163]
	v_accvgpr_read_b32 v86, a209
	ds_write_b128 v196, v[54:57] offset:2464
	ds_write_b128 v196, v[40:43] offset:4928
	ds_write_b128 v86, v[36:39]
	v_add_f64 v[36:37], v[152:153], -v[156:157]
	v_add_f64 v[38:39], v[164:165], -v[160:161]
	v_add_f64 v[54:55], v[36:37], v[38:39]
	v_add_f64 v[36:37], v[156:157], v[160:161]
	;; [unrolled: 1-line block ×3, first 2 shown]
	v_fma_f64 v[36:37], -0.5, v[36:37], v[32:33]
	v_fma_f64 v[38:39], -0.5, v[38:39], v[34:35]
	v_add_f64 v[40:41], v[150:151], -v[154:155]
	v_add_f64 v[42:43], v[162:163], -v[158:159]
	;; [unrolled: 1-line block ×4, first 2 shown]
	v_add_f64 v[56:57], v[40:41], v[42:43]
	v_add_f64 v[60:61], v[154:155], -v[158:159]
	v_fma_f64 v[40:41], s[8:9], v[58:59], v[36:37]
	v_fma_f64 v[42:43], s[10:11], v[62:63], v[38:39]
	v_add_f64 v[64:65], v[156:157], -v[160:161]
	v_fmac_f64_e32 v[40:41], s[0:1], v[60:61]
	v_fmac_f64_e32 v[42:43], s[14:15], v[64:65]
	;; [unrolled: 1-line block ×4, first 2 shown]
	ds_write_b128 v86, v[40:43] offset:1232
	v_add_f64 v[40:41], v[152:153], v[164:165]
	v_fmac_f64_e32 v[32:33], -0.5, v[40:41]
	v_add_f64 v[40:41], v[156:157], -v[152:153]
	v_add_f64 v[42:43], v[160:161], -v[164:165]
	v_add_f64 v[66:67], v[40:41], v[42:43]
	v_add_f64 v[40:41], v[150:151], v[162:163]
	v_fmac_f64_e32 v[34:35], -0.5, v[40:41]
	v_add_f64 v[40:41], v[154:155], -v[150:151]
	v_add_f64 v[42:43], v[158:159], -v[162:163]
	v_add_f64 v[84:85], v[40:41], v[42:43]
	v_fma_f64 v[40:41], s[10:11], v[60:61], v[32:33]
	v_fma_f64 v[42:43], s[8:9], v[64:65], v[34:35]
	v_fmac_f64_e32 v[32:33], s[8:9], v[60:61]
	v_fmac_f64_e32 v[34:35], s[10:11], v[64:65]
	;; [unrolled: 1-line block ×6, first 2 shown]
	ds_write_b128 v86, v[32:35] offset:3696
	v_add_f64 v[32:33], v[28:29], v[136:137]
	v_add_f64 v[34:35], v[30:31], v[134:135]
	v_fmac_f64_e32 v[36:37], s[10:11], v[58:59]
	v_fmac_f64_e32 v[38:39], s[8:9], v[62:63]
	v_add_f64 v[32:33], v[32:33], v[140:141]
	v_add_f64 v[34:35], v[34:35], v[138:139]
	v_fmac_f64_e32 v[40:41], s[0:1], v[58:59]
	v_fmac_f64_e32 v[42:43], s[14:15], v[62:63]
	;; [unrolled: 1-line block ×4, first 2 shown]
	v_add_f64 v[32:33], v[32:33], v[144:145]
	v_add_f64 v[34:35], v[34:35], v[142:143]
	v_fmac_f64_e32 v[40:41], s[2:3], v[66:67]
	v_fmac_f64_e32 v[42:43], s[2:3], v[84:85]
	;; [unrolled: 1-line block ×4, first 2 shown]
	v_add_f64 v[32:33], v[32:33], v[148:149]
	v_add_f64 v[34:35], v[34:35], v[146:147]
	v_accvgpr_read_b32 v66, a45
	ds_write_b128 v86, v[40:43] offset:2464
	ds_write_b128 v86, v[36:39] offset:4928
	ds_write_b128 v66, v[32:35]
	v_add_f64 v[32:33], v[136:137], -v[140:141]
	v_add_f64 v[34:35], v[148:149], -v[144:145]
	v_add_f64 v[40:41], v[32:33], v[34:35]
	v_add_f64 v[32:33], v[140:141], v[144:145]
	;; [unrolled: 1-line block ×3, first 2 shown]
	v_fma_f64 v[32:33], -0.5, v[32:33], v[28:29]
	v_fma_f64 v[34:35], -0.5, v[34:35], v[30:31]
	v_add_f64 v[36:37], v[134:135], -v[138:139]
	v_add_f64 v[38:39], v[146:147], -v[142:143]
	;; [unrolled: 1-line block ×4, first 2 shown]
	v_add_f64 v[42:43], v[36:37], v[38:39]
	v_add_f64 v[56:57], v[138:139], -v[142:143]
	v_fma_f64 v[36:37], s[8:9], v[54:55], v[32:33]
	v_fma_f64 v[38:39], s[10:11], v[58:59], v[34:35]
	v_add_f64 v[60:61], v[140:141], -v[144:145]
	v_fmac_f64_e32 v[36:37], s[0:1], v[56:57]
	v_fmac_f64_e32 v[38:39], s[14:15], v[60:61]
	;; [unrolled: 1-line block ×4, first 2 shown]
	ds_write_b128 v66, v[36:39] offset:1232
	v_add_f64 v[36:37], v[136:137], v[148:149]
	v_fmac_f64_e32 v[28:29], -0.5, v[36:37]
	v_add_f64 v[36:37], v[140:141], -v[136:137]
	v_add_f64 v[38:39], v[144:145], -v[148:149]
	v_add_f64 v[62:63], v[36:37], v[38:39]
	v_add_f64 v[36:37], v[134:135], v[146:147]
	v_fmac_f64_e32 v[30:31], -0.5, v[36:37]
	v_add_f64 v[36:37], v[138:139], -v[134:135]
	v_add_f64 v[38:39], v[142:143], -v[146:147]
	v_add_f64 v[64:65], v[36:37], v[38:39]
	v_fma_f64 v[36:37], s[10:11], v[56:57], v[28:29]
	v_fma_f64 v[38:39], s[8:9], v[60:61], v[30:31]
	v_fmac_f64_e32 v[28:29], s[8:9], v[56:57]
	v_fmac_f64_e32 v[30:31], s[10:11], v[60:61]
	v_fmac_f64_e32 v[28:29], s[14:15], v[54:55]
	v_fmac_f64_e32 v[30:31], s[0:1], v[58:59]
	v_fmac_f64_e32 v[28:29], s[2:3], v[62:63]
	v_fmac_f64_e32 v[30:31], s[2:3], v[64:65]
	ds_write_b128 v66, v[28:31] offset:3696
	v_add_f64 v[28:29], v[24:25], v[120:121]
	v_add_f64 v[30:31], v[26:27], v[118:119]
	v_fmac_f64_e32 v[32:33], s[10:11], v[54:55]
	v_fmac_f64_e32 v[34:35], s[8:9], v[58:59]
	v_add_f64 v[28:29], v[28:29], v[124:125]
	v_add_f64 v[30:31], v[30:31], v[122:123]
	v_fmac_f64_e32 v[36:37], s[0:1], v[54:55]
	v_fmac_f64_e32 v[38:39], s[14:15], v[58:59]
	;; [unrolled: 1-line block ×4, first 2 shown]
	v_add_f64 v[28:29], v[28:29], v[128:129]
	v_add_f64 v[30:31], v[30:31], v[126:127]
	v_fmac_f64_e32 v[36:37], s[2:3], v[62:63]
	v_fmac_f64_e32 v[38:39], s[2:3], v[64:65]
	;; [unrolled: 1-line block ×4, first 2 shown]
	v_add_f64 v[28:29], v[28:29], v[132:133]
	v_add_f64 v[30:31], v[30:31], v[130:131]
	v_accvgpr_read_b32 v62, a208
	ds_write_b128 v66, v[36:39] offset:2464
	ds_write_b128 v66, v[32:35] offset:4928
	;; [unrolled: 1-line block ×3, first 2 shown]
	v_add_f64 v[28:29], v[120:121], -v[124:125]
	v_add_f64 v[30:31], v[132:133], -v[128:129]
	v_add_f64 v[36:37], v[28:29], v[30:31]
	v_add_f64 v[28:29], v[124:125], v[128:129]
	;; [unrolled: 1-line block ×3, first 2 shown]
	v_fma_f64 v[28:29], -0.5, v[28:29], v[24:25]
	v_fma_f64 v[30:31], -0.5, v[30:31], v[26:27]
	v_add_f64 v[32:33], v[118:119], -v[122:123]
	v_add_f64 v[34:35], v[130:131], -v[126:127]
	;; [unrolled: 1-line block ×4, first 2 shown]
	v_add_f64 v[38:39], v[32:33], v[34:35]
	v_add_f64 v[42:43], v[122:123], -v[126:127]
	v_fma_f64 v[32:33], s[8:9], v[40:41], v[28:29]
	v_fma_f64 v[34:35], s[10:11], v[54:55], v[30:31]
	v_add_f64 v[56:57], v[124:125], -v[128:129]
	v_fmac_f64_e32 v[32:33], s[0:1], v[42:43]
	v_fmac_f64_e32 v[34:35], s[14:15], v[56:57]
	v_fmac_f64_e32 v[32:33], s[2:3], v[36:37]
	v_fmac_f64_e32 v[34:35], s[2:3], v[38:39]
	ds_write_b128 v62, v[32:35] offset:13552
	v_add_f64 v[32:33], v[120:121], v[132:133]
	v_fmac_f64_e32 v[24:25], -0.5, v[32:33]
	v_add_f64 v[32:33], v[124:125], -v[120:121]
	v_add_f64 v[34:35], v[128:129], -v[132:133]
	v_add_f64 v[58:59], v[32:33], v[34:35]
	v_add_f64 v[32:33], v[118:119], v[130:131]
	v_fmac_f64_e32 v[26:27], -0.5, v[32:33]
	v_add_f64 v[32:33], v[122:123], -v[118:119]
	v_add_f64 v[34:35], v[126:127], -v[130:131]
	v_add_f64 v[60:61], v[32:33], v[34:35]
	v_fma_f64 v[32:33], s[10:11], v[42:43], v[24:25]
	v_fma_f64 v[34:35], s[8:9], v[56:57], v[26:27]
	v_fmac_f64_e32 v[24:25], s[8:9], v[42:43]
	v_fmac_f64_e32 v[26:27], s[10:11], v[56:57]
	;; [unrolled: 1-line block ×6, first 2 shown]
	ds_write_b128 v62, v[24:27] offset:16016
	v_add_f64 v[24:25], v[20:21], v[104:105]
	v_add_f64 v[26:27], v[22:23], v[102:103]
	v_fmac_f64_e32 v[28:29], s[10:11], v[40:41]
	v_fmac_f64_e32 v[30:31], s[8:9], v[54:55]
	v_add_f64 v[24:25], v[24:25], v[108:109]
	v_add_f64 v[26:27], v[26:27], v[106:107]
	v_fmac_f64_e32 v[32:33], s[0:1], v[40:41]
	v_fmac_f64_e32 v[34:35], s[14:15], v[54:55]
	;; [unrolled: 1-line block ×4, first 2 shown]
	v_add_f64 v[24:25], v[24:25], v[112:113]
	v_add_f64 v[26:27], v[26:27], v[110:111]
	v_fmac_f64_e32 v[32:33], s[2:3], v[58:59]
	v_fmac_f64_e32 v[34:35], s[2:3], v[60:61]
	;; [unrolled: 1-line block ×4, first 2 shown]
	v_add_f64 v[24:25], v[24:25], v[116:117]
	v_add_f64 v[26:27], v[26:27], v[114:115]
	v_accvgpr_read_b32 v58, a231
	ds_write_b128 v62, v[32:35] offset:14784
	ds_write_b128 v62, v[28:31] offset:17248
	ds_write_b128 v58, v[24:27]
	v_add_f64 v[24:25], v[104:105], -v[108:109]
	v_add_f64 v[26:27], v[116:117], -v[112:113]
	v_add_f64 v[32:33], v[24:25], v[26:27]
	v_add_f64 v[24:25], v[108:109], v[112:113]
	;; [unrolled: 1-line block ×3, first 2 shown]
	v_fma_f64 v[24:25], -0.5, v[24:25], v[20:21]
	v_fma_f64 v[26:27], -0.5, v[26:27], v[22:23]
	v_add_f64 v[28:29], v[102:103], -v[106:107]
	v_add_f64 v[30:31], v[114:115], -v[110:111]
	;; [unrolled: 1-line block ×4, first 2 shown]
	v_add_f64 v[34:35], v[28:29], v[30:31]
	v_add_f64 v[38:39], v[106:107], -v[110:111]
	v_fma_f64 v[28:29], s[8:9], v[36:37], v[24:25]
	v_fma_f64 v[30:31], s[10:11], v[40:41], v[26:27]
	v_add_f64 v[42:43], v[108:109], -v[112:113]
	v_fmac_f64_e32 v[28:29], s[0:1], v[38:39]
	v_fmac_f64_e32 v[30:31], s[14:15], v[42:43]
	;; [unrolled: 1-line block ×4, first 2 shown]
	ds_write_b128 v58, v[28:31] offset:1232
	v_add_f64 v[28:29], v[104:105], v[116:117]
	v_fmac_f64_e32 v[20:21], -0.5, v[28:29]
	v_add_f64 v[28:29], v[108:109], -v[104:105]
	v_add_f64 v[30:31], v[112:113], -v[116:117]
	v_add_f64 v[54:55], v[28:29], v[30:31]
	v_add_f64 v[28:29], v[102:103], v[114:115]
	v_fmac_f64_e32 v[22:23], -0.5, v[28:29]
	v_add_f64 v[28:29], v[106:107], -v[102:103]
	v_add_f64 v[30:31], v[110:111], -v[114:115]
	v_add_f64 v[56:57], v[28:29], v[30:31]
	v_fma_f64 v[28:29], s[10:11], v[38:39], v[20:21]
	v_fma_f64 v[30:31], s[8:9], v[42:43], v[22:23]
	v_fmac_f64_e32 v[20:21], s[8:9], v[38:39]
	v_fmac_f64_e32 v[22:23], s[10:11], v[42:43]
	;; [unrolled: 1-line block ×6, first 2 shown]
	ds_write_b128 v58, v[20:23] offset:3696
	v_add_f64 v[20:21], v[16:17], v[76:77]
	v_add_f64 v[22:23], v[18:19], v[74:75]
	v_fmac_f64_e32 v[24:25], s[10:11], v[36:37]
	v_fmac_f64_e32 v[26:27], s[8:9], v[40:41]
	v_add_f64 v[20:21], v[20:21], v[80:81]
	v_add_f64 v[22:23], v[22:23], v[78:79]
	v_fmac_f64_e32 v[28:29], s[0:1], v[36:37]
	v_fmac_f64_e32 v[30:31], s[14:15], v[40:41]
	;; [unrolled: 1-line block ×4, first 2 shown]
	v_add_f64 v[20:21], v[20:21], v[92:93]
	v_add_f64 v[22:23], v[22:23], v[82:83]
	v_fmac_f64_e32 v[28:29], s[2:3], v[54:55]
	v_fmac_f64_e32 v[30:31], s[2:3], v[56:57]
	;; [unrolled: 1-line block ×4, first 2 shown]
	v_add_f64 v[20:21], v[20:21], v[100:101]
	v_add_f64 v[22:23], v[22:23], v[94:95]
	v_accvgpr_read_b32 v54, a147
	ds_write_b128 v58, v[28:31] offset:2464
	ds_write_b128 v58, v[24:27] offset:4928
	ds_write_b128 v54, v[20:23]
	v_add_f64 v[20:21], v[76:77], -v[80:81]
	v_add_f64 v[22:23], v[100:101], -v[92:93]
	v_add_f64 v[28:29], v[20:21], v[22:23]
	v_add_f64 v[20:21], v[80:81], v[92:93]
	;; [unrolled: 1-line block ×3, first 2 shown]
	v_fma_f64 v[20:21], -0.5, v[20:21], v[16:17]
	v_fma_f64 v[22:23], -0.5, v[22:23], v[18:19]
	v_add_f64 v[24:25], v[74:75], -v[78:79]
	v_add_f64 v[26:27], v[94:95], -v[82:83]
	;; [unrolled: 1-line block ×4, first 2 shown]
	v_add_f64 v[30:31], v[24:25], v[26:27]
	v_add_f64 v[34:35], v[78:79], -v[82:83]
	v_fma_f64 v[24:25], s[8:9], v[32:33], v[20:21]
	v_fma_f64 v[26:27], s[10:11], v[36:37], v[22:23]
	v_add_f64 v[38:39], v[80:81], -v[92:93]
	v_fmac_f64_e32 v[24:25], s[0:1], v[34:35]
	v_fmac_f64_e32 v[26:27], s[14:15], v[38:39]
	;; [unrolled: 1-line block ×4, first 2 shown]
	ds_write_b128 v54, v[24:27] offset:1232
	v_add_f64 v[24:25], v[76:77], v[100:101]
	v_fmac_f64_e32 v[16:17], -0.5, v[24:25]
	v_add_f64 v[24:25], v[80:81], -v[76:77]
	v_add_f64 v[26:27], v[92:93], -v[100:101]
	v_add_f64 v[40:41], v[24:25], v[26:27]
	v_add_f64 v[24:25], v[74:75], v[94:95]
	v_fmac_f64_e32 v[18:19], -0.5, v[24:25]
	v_add_f64 v[24:25], v[78:79], -v[74:75]
	v_add_f64 v[26:27], v[82:83], -v[94:95]
	v_add_f64 v[42:43], v[24:25], v[26:27]
	v_fma_f64 v[24:25], s[10:11], v[34:35], v[16:17]
	v_fma_f64 v[26:27], s[8:9], v[38:39], v[18:19]
	v_fmac_f64_e32 v[16:17], s[8:9], v[34:35]
	v_fmac_f64_e32 v[18:19], s[10:11], v[38:39]
	;; [unrolled: 1-line block ×6, first 2 shown]
	ds_write_b128 v54, v[16:19] offset:3696
	v_add_f64 v[16:17], v[12:13], v[46:47]
	v_add_f64 v[18:19], v[14:15], v[44:45]
	v_fmac_f64_e32 v[20:21], s[10:11], v[32:33]
	v_fmac_f64_e32 v[22:23], s[8:9], v[36:37]
	v_add_f64 v[16:17], v[16:17], v[50:51]
	v_add_f64 v[18:19], v[18:19], v[48:49]
	v_fmac_f64_e32 v[24:25], s[0:1], v[32:33]
	v_fmac_f64_e32 v[26:27], s[14:15], v[36:37]
	;; [unrolled: 1-line block ×4, first 2 shown]
	v_add_f64 v[16:17], v[16:17], v[70:71]
	v_add_f64 v[18:19], v[18:19], v[68:69]
	v_fmac_f64_e32 v[24:25], s[2:3], v[40:41]
	v_fmac_f64_e32 v[26:27], s[2:3], v[42:43]
	;; [unrolled: 1-line block ×4, first 2 shown]
	v_add_f64 v[16:17], v[16:17], v[72:73]
	v_add_f64 v[18:19], v[18:19], v[52:53]
	v_accvgpr_read_b32 v40, a230
	ds_write_b128 v54, v[24:27] offset:2464
	ds_write_b128 v54, v[20:23] offset:4928
	;; [unrolled: 1-line block ×3, first 2 shown]
	v_add_f64 v[16:17], v[46:47], -v[50:51]
	v_add_f64 v[18:19], v[72:73], -v[70:71]
	v_add_f64 v[24:25], v[16:17], v[18:19]
	v_add_f64 v[16:17], v[50:51], v[70:71]
	;; [unrolled: 1-line block ×3, first 2 shown]
	v_fma_f64 v[16:17], -0.5, v[16:17], v[12:13]
	v_fma_f64 v[18:19], -0.5, v[18:19], v[14:15]
	v_add_f64 v[20:21], v[44:45], -v[48:49]
	v_add_f64 v[22:23], v[52:53], -v[68:69]
	;; [unrolled: 1-line block ×4, first 2 shown]
	v_add_f64 v[26:27], v[20:21], v[22:23]
	v_add_f64 v[30:31], v[48:49], -v[68:69]
	v_fma_f64 v[20:21], s[8:9], v[28:29], v[16:17]
	v_fma_f64 v[22:23], s[10:11], v[32:33], v[18:19]
	v_add_f64 v[34:35], v[50:51], -v[70:71]
	v_fmac_f64_e32 v[20:21], s[0:1], v[30:31]
	v_fmac_f64_e32 v[22:23], s[14:15], v[34:35]
	v_fmac_f64_e32 v[20:21], s[2:3], v[24:25]
	v_fmac_f64_e32 v[22:23], s[2:3], v[26:27]
	ds_write_b128 v40, v[20:23] offset:25872
	v_add_f64 v[20:21], v[46:47], v[72:73]
	v_fmac_f64_e32 v[12:13], -0.5, v[20:21]
	v_add_f64 v[20:21], v[50:51], -v[46:47]
	v_add_f64 v[22:23], v[70:71], -v[72:73]
	v_add_f64 v[36:37], v[20:21], v[22:23]
	v_add_f64 v[20:21], v[44:45], v[52:53]
	v_fmac_f64_e32 v[14:15], -0.5, v[20:21]
	v_add_f64 v[20:21], v[48:49], -v[44:45]
	v_add_f64 v[22:23], v[68:69], -v[52:53]
	v_add_f64 v[38:39], v[20:21], v[22:23]
	v_fma_f64 v[20:21], s[10:11], v[30:31], v[12:13]
	v_fma_f64 v[22:23], s[8:9], v[34:35], v[14:15]
	v_fmac_f64_e32 v[12:13], s[8:9], v[30:31]
	v_fmac_f64_e32 v[14:15], s[10:11], v[34:35]
	;; [unrolled: 1-line block ×16, first 2 shown]
	ds_write_b128 v40, v[20:23] offset:27104
	ds_write_b128 v40, v[12:15] offset:28336
	;; [unrolled: 1-line block ×3, first 2 shown]
	s_waitcnt lgkmcnt(0)
	; wave barrier
	s_waitcnt lgkmcnt(0)
	ds_read_b128 v[16:19], v196 offset:6160
	ds_read_b128 v[12:15], v196 offset:5280
	v_accvgpr_read_b32 v20, a218
	v_accvgpr_read_b32 v22, a220
	v_accvgpr_read_b32 v23, a221
	v_accvgpr_read_b32 v21, a219
	s_waitcnt lgkmcnt(1)
	v_mul_f64 v[70:71], v[22:23], v[18:19]
	v_fmac_f64_e32 v[70:71], v[20:21], v[16:17]
	v_mul_f64 v[16:17], v[22:23], v[16:17]
	v_fma_f64 v[68:69], v[20:21], v[18:19], -v[16:17]
	ds_read_b128 v[16:19], v196 offset:12320
	ds_read_b128 v[22:25], v196 offset:13200
	v_accvgpr_read_b32 v26, a204
	v_accvgpr_read_b32 v28, a206
	v_accvgpr_read_b32 v29, a207
	v_accvgpr_read_b32 v27, a205
	s_waitcnt lgkmcnt(1)
	v_mul_f64 v[118:119], v[28:29], v[18:19]
	v_fmac_f64_e32 v[118:119], v[26:27], v[16:17]
	v_mul_f64 v[16:17], v[28:29], v[16:17]
	v_fma_f64 v[116:117], v[26:27], v[18:19], -v[16:17]
	;; [unrolled: 11-line block ×5, first 2 shown]
	v_accvgpr_read_b32 v34, a232
	v_accvgpr_read_b32 v36, a234
	;; [unrolled: 1-line block ×4, first 2 shown]
	v_mul_f64 v[56:57], v[36:37], v[24:25]
	v_mul_f64 v[18:19], v[36:37], v[22:23]
	v_fmac_f64_e32 v[56:57], v[34:35], v[22:23]
	v_fma_f64 v[18:19], v[34:35], v[24:25], -v[18:19]
	ds_read_b128 v[22:25], v196 offset:19360
	ds_read_b128 v[34:37], v196 offset:20240
	v_accvgpr_read_b32 v38, a236
	v_accvgpr_read_b32 v40, a238
	;; [unrolled: 1-line block ×4, first 2 shown]
	s_waitcnt lgkmcnt(1)
	v_mul_f64 v[72:73], v[40:41], v[24:25]
	v_fmac_f64_e32 v[72:73], v[38:39], v[22:23]
	v_mul_f64 v[22:23], v[40:41], v[22:23]
	v_fma_f64 v[24:25], v[38:39], v[24:25], -v[22:23]
	v_accvgpr_read_b32 v38, a222
	v_accvgpr_read_b32 v40, a224
	v_accvgpr_read_b32 v41, a225
	v_accvgpr_read_b32 v39, a223
	v_mul_f64 v[74:75], v[40:41], v[28:29]
	v_mul_f64 v[22:23], v[40:41], v[26:27]
	v_fmac_f64_e32 v[74:75], v[38:39], v[26:27]
	v_fma_f64 v[58:59], v[38:39], v[28:29], -v[22:23]
	v_accvgpr_read_b32 v38, a226
	v_accvgpr_read_b32 v40, a228
	v_accvgpr_read_b32 v41, a229
	v_accvgpr_read_b32 v39, a227
	v_mul_f64 v[22:23], v[40:41], v[32:33]
	v_fmac_f64_e32 v[22:23], v[38:39], v[30:31]
	v_mul_f64 v[26:27], v[40:41], v[30:31]
	ds_read_b128 v[28:31], v196 offset:14080
	ds_read_b128 v[40:43], v196 offset:14960
	v_accvgpr_read_b32 v44, a248
	v_accvgpr_read_b32 v46, a250
	;; [unrolled: 1-line block ×3, first 2 shown]
	v_fma_f64 v[26:27], v[38:39], v[32:33], -v[26:27]
	v_accvgpr_read_b32 v45, a249
	s_waitcnt lgkmcnt(1)
	v_mul_f64 v[32:33], v[46:47], v[30:31]
	v_fmac_f64_e32 v[32:33], v[44:45], v[28:29]
	v_mul_f64 v[28:29], v[46:47], v[28:29]
	v_accvgpr_read_b32 v46, a252
	v_accvgpr_read_b32 v48, a254
	;; [unrolled: 1-line block ×3, first 2 shown]
	v_fma_f64 v[28:29], v[44:45], v[30:31], -v[28:29]
	v_accvgpr_read_b32 v47, a253
	v_mul_f64 v[44:45], v[48:49], v[36:37]
	v_mul_f64 v[30:31], v[48:49], v[34:35]
	v_fmac_f64_e32 v[44:45], v[46:47], v[34:35]
	v_fma_f64 v[30:31], v[46:47], v[36:37], -v[30:31]
	ds_read_b128 v[34:37], v196 offset:26400
	ds_read_b128 v[62:65], v196 offset:27280
	v_accvgpr_read_b32 v51, a3
	v_accvgpr_read_b32 v50, a2
	;; [unrolled: 1-line block ×4, first 2 shown]
	s_waitcnt lgkmcnt(1)
	v_mul_f64 v[46:47], v[50:51], v[36:37]
	v_fmac_f64_e32 v[46:47], v[48:49], v[34:35]
	v_mul_f64 v[34:35], v[50:51], v[34:35]
	v_fma_f64 v[36:37], v[48:49], v[36:37], -v[34:35]
	ds_read_b128 v[48:51], v196 offset:8800
	ds_read_b128 v[76:79], v196 offset:9680
	v_accvgpr_read_b32 v52, a244
	v_accvgpr_read_b32 v54, a246
	;; [unrolled: 1-line block ×4, first 2 shown]
	s_waitcnt lgkmcnt(1)
	v_mul_f64 v[38:39], v[54:55], v[48:49]
	v_mul_f64 v[34:35], v[54:55], v[50:51]
	v_fma_f64 v[38:39], v[52:53], v[50:51], -v[38:39]
	v_mul_f64 v[50:51], v[200:201], v[62:63]
	ds_read_b128 v[80:83], v196 offset:21120
	ds_read_b128 v[86:89], v196 offset:22000
	v_mul_f64 v[60:61], v[200:201], v[64:65]
	v_fma_f64 v[50:51], v[198:199], v[64:65], -v[50:51]
	ds_read_b128 v[64:67], v196 offset:15840
	ds_read_b128 v[90:93], v196 offset:16720
	s_waitcnt lgkmcnt(4)
	v_mul_f64 v[54:55], v[222:223], v[78:79]
	v_fmac_f64_e32 v[60:61], v[198:199], v[62:63]
	v_fmac_f64_e32 v[54:55], v[220:221], v[76:77]
	v_mul_f64 v[62:63], v[222:223], v[76:77]
	s_waitcnt lgkmcnt(1)
	v_mul_f64 v[76:77], v[226:227], v[66:67]
	v_fmac_f64_e32 v[76:77], v[224:225], v[64:65]
	v_mul_f64 v[64:65], v[226:227], v[64:65]
	v_fmac_f64_e32 v[34:35], v[52:53], v[48:49]
	v_mul_f64 v[48:49], v[210:211], v[42:43]
	v_fma_f64 v[64:65], v[224:225], v[66:67], -v[64:65]
	v_mul_f64 v[66:67], v[234:235], v[86:87]
	v_fmac_f64_e32 v[48:49], v[208:209], v[40:41]
	v_mul_f64 v[40:41], v[210:211], v[40:41]
	v_mul_f64 v[52:53], v[214:215], v[82:83]
	;; [unrolled: 1-line block ×3, first 2 shown]
	v_fma_f64 v[66:67], v[232:233], v[88:89], -v[66:67]
	s_waitcnt lgkmcnt(0)
	v_mul_f64 v[108:109], v[246:247], v[92:93]
	v_mul_f64 v[88:89], v[246:247], v[90:91]
	v_fma_f64 v[40:41], v[208:209], v[42:43], -v[40:41]
	v_fmac_f64_e32 v[52:53], v[212:213], v[80:81]
	v_mul_f64 v[42:43], v[214:215], v[80:81]
	v_fma_f64 v[62:63], v[220:221], v[78:79], -v[62:63]
	ds_read_b128 v[78:81], v196 offset:28160
	ds_read_b128 v[100:103], v196 offset:29040
	;; [unrolled: 1-line block ×4, first 2 shown]
	v_fmac_f64_e32 v[108:109], v[244:245], v[90:91]
	v_fma_f64 v[88:89], v[244:245], v[92:93], -v[88:89]
	ds_read_b128 v[90:93], v196 offset:22880
	ds_read_b128 v[132:135], v196 offset:23760
	s_waitcnt lgkmcnt(4)
	v_mul_f64 v[114:115], v[250:251], v[102:103]
	v_fmac_f64_e32 v[114:115], v[248:249], v[100:101]
	v_fmac_f64_e32 v[84:85], v[232:233], v[86:87]
	s_waitcnt lgkmcnt(1)
	v_mul_f64 v[112:113], v[242:243], v[92:93]
	v_fmac_f64_e32 v[112:113], v[240:241], v[90:91]
	v_mul_f64 v[90:91], v[242:243], v[90:91]
	v_fma_f64 v[92:93], v[240:241], v[92:93], -v[90:91]
	v_mul_f64 v[90:91], v[250:251], v[100:101]
	v_mul_f64 v[100:101], v[2:3], v[98:99]
	;; [unrolled: 1-line block ×3, first 2 shown]
	v_fmac_f64_e32 v[100:101], v[0:1], v[96:97]
	v_fma_f64 v[96:97], v[0:1], v[98:99], -v[2:3]
	s_waitcnt lgkmcnt(0)
	v_mul_f64 v[0:1], v[6:7], v[132:133]
	v_fma_f64 v[98:99], v[4:5], v[134:135], -v[0:1]
	ds_read_b128 v[0:3], v196 offset:29920
	v_mul_f64 v[86:87], v[230:231], v[80:81]
	v_fma_f64 v[42:43], v[212:213], v[82:83], -v[42:43]
	v_fmac_f64_e32 v[86:87], v[228:229], v[78:79]
	v_mul_f64 v[78:79], v[230:231], v[78:79]
	v_mul_f64 v[82:83], v[238:239], v[104:105]
	v_fma_f64 v[80:81], v[228:229], v[80:81], -v[78:79]
	v_mul_f64 v[78:79], v[238:239], v[106:107]
	v_fma_f64 v[82:83], v[236:237], v[106:107], -v[82:83]
	s_waitcnt lgkmcnt(0)
	v_mul_f64 v[106:107], v[10:11], v[2:3]
	v_fmac_f64_e32 v[78:79], v[236:237], v[104:105]
	v_mul_f64 v[104:105], v[6:7], v[134:135]
	v_fmac_f64_e32 v[106:107], v[8:9], v[0:1]
	v_mul_f64 v[0:1], v[10:11], v[0:1]
	v_fma_f64 v[110:111], v[248:249], v[102:103], -v[90:91]
	v_fmac_f64_e32 v[104:105], v[4:5], v[132:133]
	v_fma_f64 v[102:103], v[8:9], v[2:3], -v[0:1]
	ds_read_b128 v[4:7], v196
	ds_read_b128 v[0:3], v196 offset:880
	v_mul_f64 v[90:91], v[254:255], v[130:131]
	v_mul_f64 v[94:95], v[254:255], v[128:129]
	v_fmac_f64_e32 v[90:91], v[252:253], v[128:129]
	s_waitcnt lgkmcnt(1)
	v_add_f64 v[8:9], v[4:5], v[70:71]
	v_add_f64 v[10:11], v[6:7], v[68:69]
	v_add_f64 v[8:9], v[8:9], v[118:119]
	v_add_f64 v[10:11], v[10:11], v[116:117]
	v_add_f64 v[8:9], v[8:9], v[122:123]
	v_add_f64 v[10:11], v[10:11], v[120:121]
	v_add_f64 v[8:9], v[8:9], v[126:127]
	v_add_f64 v[10:11], v[10:11], v[124:125]
	ds_write_b128 v196, v[8:11]
	v_add_f64 v[8:9], v[70:71], -v[118:119]
	v_add_f64 v[10:11], v[126:127], -v[122:123]
	v_add_f64 v[132:133], v[8:9], v[10:11]
	v_add_f64 v[8:9], v[118:119], v[122:123]
	v_add_f64 v[10:11], v[116:117], v[120:121]
	v_fma_f64 v[94:95], v[252:253], v[130:131], -v[94:95]
	v_fma_f64 v[8:9], -0.5, v[8:9], v[4:5]
	v_fma_f64 v[10:11], -0.5, v[10:11], v[6:7]
	v_add_f64 v[128:129], v[68:69], -v[116:117]
	v_add_f64 v[130:131], v[124:125], -v[120:121]
	;; [unrolled: 1-line block ×4, first 2 shown]
	v_add_f64 v[134:135], v[128:129], v[130:131]
	v_add_f64 v[138:139], v[116:117], -v[120:121]
	v_fma_f64 v[128:129], s[8:9], v[136:137], v[8:9]
	v_fma_f64 v[130:131], s[10:11], v[140:141], v[10:11]
	v_add_f64 v[142:143], v[118:119], -v[122:123]
	v_fmac_f64_e32 v[128:129], s[0:1], v[138:139]
	v_fmac_f64_e32 v[130:131], s[14:15], v[142:143]
	;; [unrolled: 1-line block ×4, first 2 shown]
	ds_write_b128 v196, v[128:131] offset:6160
	v_add_f64 v[128:129], v[70:71], v[126:127]
	v_add_f64 v[70:71], v[118:119], -v[70:71]
	v_add_f64 v[118:119], v[122:123], -v[126:127]
	v_add_f64 v[118:119], v[70:71], v[118:119]
	v_add_f64 v[70:71], v[68:69], v[124:125]
	v_fmac_f64_e32 v[4:5], -0.5, v[128:129]
	v_fmac_f64_e32 v[6:7], -0.5, v[70:71]
	v_add_f64 v[68:69], v[116:117], -v[68:69]
	v_add_f64 v[70:71], v[120:121], -v[124:125]
	v_add_f64 v[116:117], v[68:69], v[70:71]
	v_fma_f64 v[68:69], s[10:11], v[138:139], v[4:5]
	v_fma_f64 v[70:71], s[8:9], v[142:143], v[6:7]
	v_fmac_f64_e32 v[4:5], s[8:9], v[138:139]
	v_fmac_f64_e32 v[6:7], s[10:11], v[142:143]
	;; [unrolled: 1-line block ×10, first 2 shown]
	ds_write_b128 v196, v[4:7] offset:18480
	v_fmac_f64_e32 v[8:9], s[14:15], v[138:139]
	v_fmac_f64_e32 v[10:11], s[0:1], v[142:143]
	v_add_f64 v[4:5], v[20:21], -v[56:57]
	v_add_f64 v[6:7], v[74:75], -v[72:73]
	v_fmac_f64_e32 v[68:69], s[2:3], v[118:119]
	v_fmac_f64_e32 v[70:71], s[2:3], v[116:117]
	;; [unrolled: 1-line block ×4, first 2 shown]
	v_add_f64 v[6:7], v[4:5], v[6:7]
	v_add_f64 v[4:5], v[56:57], v[72:73]
	ds_write_b128 v196, v[68:71] offset:12320
	ds_write_b128 v196, v[8:11] offset:24640
	s_waitcnt lgkmcnt(5)
	v_fma_f64 v[68:69], -0.5, v[4:5], v[0:1]
	v_add_f64 v[8:9], v[16:17], -v[58:59]
	v_add_f64 v[10:11], v[18:19], -v[24:25]
	v_fma_f64 v[4:5], s[8:9], v[8:9], v[68:69]
	v_fmac_f64_e32 v[68:69], s[10:11], v[8:9]
	v_fmac_f64_e32 v[4:5], s[0:1], v[10:11]
	v_fmac_f64_e32 v[68:69], s[14:15], v[10:11]
	v_add_f64 v[70:71], v[20:21], v[74:75]
	v_fmac_f64_e32 v[4:5], s[2:3], v[6:7]
	v_fmac_f64_e32 v[68:69], s[2:3], v[6:7]
	v_add_f64 v[6:7], v[0:1], v[20:21]
	v_fmac_f64_e32 v[0:1], -0.5, v[70:71]
	v_add_f64 v[70:71], v[56:57], -v[20:21]
	v_add_f64 v[116:117], v[72:73], -v[74:75]
	v_add_f64 v[70:71], v[70:71], v[116:117]
	v_fma_f64 v[116:117], s[10:11], v[10:11], v[0:1]
	v_fmac_f64_e32 v[0:1], s[8:9], v[10:11]
	v_fmac_f64_e32 v[116:117], s[0:1], v[8:9]
	;; [unrolled: 1-line block ×3, first 2 shown]
	v_add_f64 v[6:7], v[6:7], v[56:57]
	v_add_f64 v[8:9], v[2:3], v[16:17]
	;; [unrolled: 1-line block ×7, first 2 shown]
	v_fmac_f64_e32 v[116:117], s[2:3], v[70:71]
	v_fmac_f64_e32 v[0:1], s[2:3], v[70:71]
	v_fma_f64 v[70:71], -0.5, v[6:7], v[2:3]
	v_add_f64 v[20:21], v[20:21], -v[74:75]
	v_add_f64 v[56:57], v[56:57], -v[72:73]
	;; [unrolled: 1-line block ×4, first 2 shown]
	v_add_f64 v[72:73], v[6:7], v[72:73]
	v_fma_f64 v[6:7], s[10:11], v[20:21], v[70:71]
	v_fmac_f64_e32 v[70:71], s[8:9], v[20:21]
	v_fmac_f64_e32 v[6:7], s[14:15], v[56:57]
	;; [unrolled: 1-line block ×3, first 2 shown]
	v_add_f64 v[10:11], v[10:11], v[58:59]
	v_fmac_f64_e32 v[6:7], s[2:3], v[72:73]
	v_fmac_f64_e32 v[70:71], s[2:3], v[72:73]
	v_add_f64 v[72:73], v[16:17], v[58:59]
	v_fmac_f64_e32 v[2:3], -0.5, v[72:73]
	ds_write_b128 v196, v[8:11] offset:880
	ds_read_b128 v[8:11], v196 offset:1760
	v_add_f64 v[16:17], v[18:19], -v[16:17]
	v_add_f64 v[18:19], v[24:25], -v[58:59]
	v_fma_f64 v[118:119], s[8:9], v[56:57], v[2:3]
	v_fmac_f64_e32 v[2:3], s[10:11], v[56:57]
	v_add_f64 v[16:17], v[16:17], v[18:19]
	v_fmac_f64_e32 v[118:119], s[14:15], v[20:21]
	v_fmac_f64_e32 v[2:3], s[0:1], v[20:21]
	v_fmac_f64_e32 v[118:119], s[2:3], v[16:17]
	v_fmac_f64_e32 v[2:3], s[2:3], v[16:17]
	v_add_f64 v[16:17], v[22:23], -v[32:33]
	v_add_f64 v[18:19], v[46:47], -v[44:45]
	v_add_f64 v[18:19], v[16:17], v[18:19]
	v_add_f64 v[16:17], v[32:33], v[44:45]
	ds_write_b128 v196, v[4:7] offset:7040
	ds_read_b128 v[4:7], v196 offset:2640
	s_waitcnt lgkmcnt(2)
	v_fma_f64 v[16:17], -0.5, v[16:17], v[8:9]
	v_add_f64 v[56:57], v[26:27], -v[36:37]
	v_add_f64 v[58:59], v[28:29], -v[30:31]
	v_fma_f64 v[20:21], s[8:9], v[56:57], v[16:17]
	v_fmac_f64_e32 v[16:17], s[10:11], v[56:57]
	v_fmac_f64_e32 v[20:21], s[0:1], v[58:59]
	;; [unrolled: 1-line block ×3, first 2 shown]
	v_add_f64 v[24:25], v[22:23], v[46:47]
	v_fmac_f64_e32 v[20:21], s[2:3], v[18:19]
	v_fmac_f64_e32 v[16:17], s[2:3], v[18:19]
	v_add_f64 v[18:19], v[8:9], v[22:23]
	v_fmac_f64_e32 v[8:9], -0.5, v[24:25]
	v_add_f64 v[24:25], v[32:33], -v[22:23]
	v_add_f64 v[72:73], v[44:45], -v[46:47]
	v_add_f64 v[72:73], v[24:25], v[72:73]
	v_fma_f64 v[24:25], s[10:11], v[58:59], v[8:9]
	v_fmac_f64_e32 v[8:9], s[8:9], v[58:59]
	v_fmac_f64_e32 v[24:25], s[0:1], v[56:57]
	;; [unrolled: 1-line block ×3, first 2 shown]
	v_add_f64 v[18:19], v[18:19], v[32:33]
	v_add_f64 v[56:57], v[10:11], v[26:27]
	;; [unrolled: 1-line block ×7, first 2 shown]
	v_fma_f64 v[18:19], -0.5, v[18:19], v[10:11]
	v_add_f64 v[46:47], v[22:23], -v[46:47]
	v_add_f64 v[32:33], v[32:33], -v[44:45]
	;; [unrolled: 1-line block ×4, first 2 shown]
	v_add_f64 v[44:45], v[22:23], v[44:45]
	v_fma_f64 v[22:23], s[10:11], v[46:47], v[18:19]
	v_fmac_f64_e32 v[18:19], s[8:9], v[46:47]
	v_fmac_f64_e32 v[22:23], s[14:15], v[32:33]
	;; [unrolled: 1-line block ×5, first 2 shown]
	v_add_f64 v[44:45], v[26:27], v[36:37]
	v_fmac_f64_e32 v[10:11], -0.5, v[44:45]
	v_add_f64 v[26:27], v[28:29], -v[26:27]
	v_add_f64 v[28:29], v[30:31], -v[36:37]
	v_add_f64 v[28:29], v[26:27], v[28:29]
	v_fma_f64 v[26:27], s[8:9], v[32:33], v[10:11]
	v_fmac_f64_e32 v[10:11], s[10:11], v[32:33]
	v_fmac_f64_e32 v[26:27], s[14:15], v[46:47]
	;; [unrolled: 1-line block ×5, first 2 shown]
	v_add_f64 v[28:29], v[34:35], -v[48:49]
	v_add_f64 v[30:31], v[60:61], -v[52:53]
	v_add_f64 v[30:31], v[28:29], v[30:31]
	v_add_f64 v[28:29], v[48:49], v[52:53]
	s_waitcnt lgkmcnt(0)
	v_fma_f64 v[28:29], -0.5, v[28:29], v[4:5]
	v_add_f64 v[44:45], v[38:39], -v[50:51]
	v_add_f64 v[46:47], v[40:41], -v[42:43]
	v_fma_f64 v[32:33], s[8:9], v[44:45], v[28:29]
	v_fmac_f64_e32 v[28:29], s[10:11], v[44:45]
	v_add_f64 v[58:59], v[58:59], v[36:37]
	v_fmac_f64_e32 v[32:33], s[0:1], v[46:47]
	v_fmac_f64_e32 v[28:29], s[14:15], v[46:47]
	v_add_f64 v[36:37], v[34:35], v[60:61]
	v_fmac_f64_e32 v[24:25], s[2:3], v[72:73]
	v_fmac_f64_e32 v[8:9], s[2:3], v[72:73]
	;; [unrolled: 1-line block ×4, first 2 shown]
	v_add_f64 v[30:31], v[4:5], v[34:35]
	v_fmac_f64_e32 v[4:5], -0.5, v[36:37]
	v_add_f64 v[36:37], v[48:49], -v[34:35]
	v_add_f64 v[72:73], v[52:53], -v[60:61]
	v_add_f64 v[72:73], v[36:37], v[72:73]
	v_fma_f64 v[36:37], s[10:11], v[46:47], v[4:5]
	v_fmac_f64_e32 v[4:5], s[8:9], v[46:47]
	v_fmac_f64_e32 v[36:37], s[0:1], v[44:45]
	;; [unrolled: 1-line block ×3, first 2 shown]
	v_add_f64 v[30:31], v[30:31], v[48:49]
	v_add_f64 v[44:45], v[6:7], v[38:39]
	;; [unrolled: 1-line block ×7, first 2 shown]
	v_fma_f64 v[30:31], -0.5, v[30:31], v[6:7]
	v_add_f64 v[60:61], v[34:35], -v[60:61]
	v_add_f64 v[48:49], v[48:49], -v[52:53]
	;; [unrolled: 1-line block ×4, first 2 shown]
	v_add_f64 v[52:53], v[34:35], v[52:53]
	v_fma_f64 v[34:35], s[10:11], v[60:61], v[30:31]
	v_fmac_f64_e32 v[30:31], s[8:9], v[60:61]
	v_fmac_f64_e32 v[34:35], s[14:15], v[48:49]
	v_fmac_f64_e32 v[30:31], s[0:1], v[48:49]
	v_fmac_f64_e32 v[34:35], s[2:3], v[52:53]
	v_fmac_f64_e32 v[30:31], s[2:3], v[52:53]
	v_add_f64 v[52:53], v[38:39], v[50:51]
	v_fmac_f64_e32 v[6:7], -0.5, v[52:53]
	v_add_f64 v[38:39], v[40:41], -v[38:39]
	v_add_f64 v[40:41], v[42:43], -v[50:51]
	v_add_f64 v[40:41], v[38:39], v[40:41]
	v_fma_f64 v[38:39], s[8:9], v[48:49], v[6:7]
	v_fmac_f64_e32 v[6:7], s[10:11], v[48:49]
	v_fmac_f64_e32 v[38:39], s[14:15], v[60:61]
	;; [unrolled: 1-line block ×5, first 2 shown]
	v_add_f64 v[40:41], v[54:55], -v[76:77]
	v_add_f64 v[42:43], v[86:87], -v[84:85]
	v_add_f64 v[46:47], v[46:47], v[50:51]
	v_add_f64 v[50:51], v[40:41], v[42:43]
	ds_read_b128 v[40:43], v196 offset:3520
	v_add_f64 v[48:49], v[76:77], v[84:85]
	v_fmac_f64_e32 v[36:37], s[2:3], v[72:73]
	v_fmac_f64_e32 v[4:5], s[2:3], v[72:73]
	ds_write_b128 v196, v[0:3] offset:19360
	ds_read_b128 v[0:3], v196 offset:4400
	s_waitcnt lgkmcnt(2)
	v_fma_f64 v[48:49], -0.5, v[48:49], v[40:41]
	v_add_f64 v[72:73], v[62:63], -v[80:81]
	v_add_f64 v[74:75], v[64:65], -v[66:67]
	v_fma_f64 v[52:53], s[8:9], v[72:73], v[48:49]
	v_fmac_f64_e32 v[48:49], s[10:11], v[72:73]
	v_fmac_f64_e32 v[52:53], s[0:1], v[74:75]
	;; [unrolled: 1-line block ×3, first 2 shown]
	v_add_f64 v[60:61], v[54:55], v[86:87]
	ds_write_b128 v196, v[116:119] offset:13200
	v_fmac_f64_e32 v[52:53], s[2:3], v[50:51]
	v_fmac_f64_e32 v[48:49], s[2:3], v[50:51]
	v_add_f64 v[50:51], v[40:41], v[54:55]
	v_fmac_f64_e32 v[40:41], -0.5, v[60:61]
	v_add_f64 v[60:61], v[76:77], -v[54:55]
	v_add_f64 v[116:117], v[84:85], -v[86:87]
	v_add_f64 v[116:117], v[60:61], v[116:117]
	v_fma_f64 v[60:61], s[10:11], v[74:75], v[40:41]
	v_fmac_f64_e32 v[40:41], s[8:9], v[74:75]
	v_fmac_f64_e32 v[60:61], s[0:1], v[72:73]
	;; [unrolled: 1-line block ×3, first 2 shown]
	v_add_f64 v[50:51], v[50:51], v[76:77]
	v_add_f64 v[72:73], v[42:43], v[62:63]
	;; [unrolled: 1-line block ×7, first 2 shown]
	v_fma_f64 v[50:51], -0.5, v[50:51], v[42:43]
	v_add_f64 v[86:87], v[54:55], -v[86:87]
	v_add_f64 v[76:77], v[76:77], -v[84:85]
	;; [unrolled: 1-line block ×4, first 2 shown]
	v_add_f64 v[84:85], v[54:55], v[84:85]
	v_fma_f64 v[54:55], s[10:11], v[86:87], v[50:51]
	v_fmac_f64_e32 v[50:51], s[8:9], v[86:87]
	v_fmac_f64_e32 v[54:55], s[14:15], v[76:77]
	v_fmac_f64_e32 v[50:51], s[0:1], v[76:77]
	v_fmac_f64_e32 v[54:55], s[2:3], v[84:85]
	v_fmac_f64_e32 v[50:51], s[2:3], v[84:85]
	v_add_f64 v[84:85], v[62:63], v[80:81]
	v_fmac_f64_e32 v[42:43], -0.5, v[84:85]
	v_add_f64 v[62:63], v[64:65], -v[62:63]
	v_add_f64 v[64:65], v[66:67], -v[80:81]
	v_add_f64 v[64:65], v[62:63], v[64:65]
	v_fma_f64 v[62:63], s[8:9], v[76:77], v[42:43]
	v_fmac_f64_e32 v[42:43], s[10:11], v[76:77]
	v_fmac_f64_e32 v[62:63], s[14:15], v[86:87]
	;; [unrolled: 1-line block ×5, first 2 shown]
	v_add_f64 v[64:65], v[78:79], -v[108:109]
	v_add_f64 v[66:67], v[114:115], -v[112:113]
	v_add_f64 v[66:67], v[64:65], v[66:67]
	v_add_f64 v[64:65], v[108:109], v[112:113]
	s_waitcnt lgkmcnt(1)
	v_fma_f64 v[64:65], -0.5, v[64:65], v[0:1]
	v_add_f64 v[84:85], v[82:83], -v[110:111]
	v_add_f64 v[86:87], v[88:89], -v[92:93]
	v_fma_f64 v[76:77], s[8:9], v[84:85], v[64:65]
	v_fmac_f64_e32 v[64:65], s[10:11], v[84:85]
	v_add_f64 v[74:75], v[74:75], v[80:81]
	v_fmac_f64_e32 v[76:77], s[0:1], v[86:87]
	v_fmac_f64_e32 v[64:65], s[14:15], v[86:87]
	v_add_f64 v[80:81], v[78:79], v[114:115]
	v_fmac_f64_e32 v[60:61], s[2:3], v[116:117]
	v_fmac_f64_e32 v[40:41], s[2:3], v[116:117]
	;; [unrolled: 1-line block ×4, first 2 shown]
	v_add_f64 v[66:67], v[0:1], v[78:79]
	v_fmac_f64_e32 v[0:1], -0.5, v[80:81]
	v_add_f64 v[80:81], v[108:109], -v[78:79]
	v_add_f64 v[116:117], v[112:113], -v[114:115]
	v_add_f64 v[116:117], v[80:81], v[116:117]
	v_fma_f64 v[80:81], s[10:11], v[86:87], v[0:1]
	v_fmac_f64_e32 v[0:1], s[8:9], v[86:87]
	v_fmac_f64_e32 v[80:81], s[0:1], v[84:85]
	;; [unrolled: 1-line block ×3, first 2 shown]
	v_add_f64 v[66:67], v[66:67], v[108:109]
	v_add_f64 v[84:85], v[2:3], v[82:83]
	;; [unrolled: 1-line block ×7, first 2 shown]
	v_fma_f64 v[66:67], -0.5, v[66:67], v[2:3]
	v_add_f64 v[114:115], v[78:79], -v[114:115]
	v_add_f64 v[108:109], v[108:109], -v[112:113]
	;; [unrolled: 1-line block ×4, first 2 shown]
	v_add_f64 v[112:113], v[78:79], v[112:113]
	v_fma_f64 v[78:79], s[10:11], v[114:115], v[66:67]
	v_fmac_f64_e32 v[66:67], s[8:9], v[114:115]
	v_fmac_f64_e32 v[78:79], s[14:15], v[108:109]
	;; [unrolled: 1-line block ×5, first 2 shown]
	v_add_f64 v[112:113], v[82:83], v[110:111]
	v_fmac_f64_e32 v[2:3], -0.5, v[112:113]
	v_add_f64 v[82:83], v[88:89], -v[82:83]
	v_add_f64 v[88:89], v[92:93], -v[110:111]
	v_add_f64 v[88:89], v[82:83], v[88:89]
	v_fma_f64 v[82:83], s[8:9], v[108:109], v[2:3]
	v_fmac_f64_e32 v[2:3], s[10:11], v[108:109]
	v_fmac_f64_e32 v[82:83], s[14:15], v[114:115]
	v_fmac_f64_e32 v[2:3], s[0:1], v[114:115]
	v_fmac_f64_e32 v[82:83], s[2:3], v[88:89]
	v_fmac_f64_e32 v[2:3], s[2:3], v[88:89]
	v_add_f64 v[88:89], v[100:101], v[104:105]
	ds_write_b128 v196, v[68:71] offset:25520
	v_add_f64 v[68:69], v[90:91], -v[100:101]
	v_add_f64 v[70:71], v[106:107], -v[104:105]
	v_add_f64 v[70:71], v[68:69], v[70:71]
	v_fma_f64 v[68:69], -0.5, v[88:89], v[12:13]
	v_add_f64 v[108:109], v[94:95], -v[102:103]
	v_add_f64 v[86:87], v[86:87], v[110:111]
	v_add_f64 v[110:111], v[96:97], -v[98:99]
	v_fma_f64 v[88:89], s[8:9], v[108:109], v[68:69]
	v_fmac_f64_e32 v[68:69], s[10:11], v[108:109]
	v_fmac_f64_e32 v[88:89], s[0:1], v[110:111]
	;; [unrolled: 1-line block ×3, first 2 shown]
	v_add_f64 v[92:93], v[90:91], v[106:107]
	v_fmac_f64_e32 v[88:89], s[2:3], v[70:71]
	v_fmac_f64_e32 v[68:69], s[2:3], v[70:71]
	v_add_f64 v[70:71], v[12:13], v[90:91]
	v_fmac_f64_e32 v[12:13], -0.5, v[92:93]
	v_add_f64 v[92:93], v[100:101], -v[90:91]
	v_add_f64 v[112:113], v[104:105], -v[106:107]
	v_add_f64 v[112:113], v[92:93], v[112:113]
	v_fma_f64 v[92:93], s[10:11], v[110:111], v[12:13]
	v_fmac_f64_e32 v[12:13], s[8:9], v[110:111]
	v_fmac_f64_e32 v[92:93], s[0:1], v[108:109]
	;; [unrolled: 1-line block ×3, first 2 shown]
	v_add_f64 v[70:71], v[70:71], v[100:101]
	v_add_f64 v[108:109], v[14:15], v[94:95]
	;; [unrolled: 1-line block ×7, first 2 shown]
	v_fma_f64 v[70:71], -0.5, v[70:71], v[14:15]
	v_add_f64 v[106:107], v[90:91], -v[106:107]
	v_add_f64 v[100:101], v[100:101], -v[104:105]
	;; [unrolled: 1-line block ×4, first 2 shown]
	v_add_f64 v[104:105], v[90:91], v[104:105]
	v_fma_f64 v[90:91], s[10:11], v[106:107], v[70:71]
	v_fmac_f64_e32 v[70:71], s[8:9], v[106:107]
	v_fmac_f64_e32 v[90:91], s[14:15], v[100:101]
	;; [unrolled: 1-line block ×5, first 2 shown]
	v_add_f64 v[104:105], v[94:95], v[102:103]
	v_add_f64 v[110:111], v[110:111], v[102:103]
	v_fmac_f64_e32 v[14:15], -0.5, v[104:105]
	v_add_f64 v[94:95], v[96:97], -v[94:95]
	v_add_f64 v[96:97], v[98:99], -v[102:103]
	v_accvgpr_read_b32 v102, a146
	v_add_f64 v[98:99], v[94:95], v[96:97]
	v_fma_f64 v[94:95], s[8:9], v[100:101], v[14:15]
	v_fmac_f64_e32 v[14:15], s[10:11], v[100:101]
	v_mad_u64_u32 v[96:97], s[8:9], s6, v102, 0
	v_fmac_f64_e32 v[0:1], s[2:3], v[116:117]
	v_fmac_f64_e32 v[94:95], s[14:15], v[106:107]
	;; [unrolled: 1-line block ×3, first 2 shown]
	v_mov_b32_e32 v100, v97
	v_fmac_f64_e32 v[80:81], s[2:3], v[116:117]
	v_fmac_f64_e32 v[92:93], s[2:3], v[112:113]
	;; [unrolled: 1-line block ×5, first 2 shown]
	ds_write_b128 v196, v[56:59] offset:1760
	ds_write_b128 v196, v[20:23] offset:7920
	;; [unrolled: 1-line block ×25, first 2 shown]
	v_mad_u64_u32 v[0:1], s[0:1], s7, v102, v[100:101]
	s_waitcnt lgkmcnt(0)
	; wave barrier
	s_waitcnt lgkmcnt(0)
	ds_read_b128 v[4:7], v196
	v_mov_b32_e32 v97, v0
	ds_read_b128 v[0:3], v196 offset:880
	buffer_load_dword v10, off, s[44:47], 0 offset:284 ; 4-byte Folded Reload
	buffer_load_dword v11, off, s[44:47], 0 offset:288 ; 4-byte Folded Reload
	;; [unrolled: 1-line block ×4, first 2 shown]
	s_mov_b32 s0, 0xebc93598
	s_mov_b32 s1, 0x3f4105b7
	v_mov_b32_e32 v38, 0x1130
	v_mov_b32_e32 v39, 0xffff9c50
	s_waitcnt vmcnt(0) lgkmcnt(1)
	v_mul_f64 v[8:9], v[12:13], v[6:7]
	v_fmac_f64_e32 v[8:9], v[10:11], v[4:5]
	v_mul_f64 v[4:5], v[12:13], v[4:5]
	v_fma_f64 v[4:5], v[10:11], v[6:7], -v[4:5]
	v_accvgpr_read_b32 v12, a44
	v_mul_f64 v[10:11], v[4:5], s[0:1]
	v_mad_u64_u32 v[4:5], s[2:3], s4, v12, 0
	v_mov_b32_e32 v6, v5
	v_mad_u64_u32 v[6:7], s[2:3], s5, v12, v[6:7]
	v_mov_b32_e32 v5, v6
	v_lshlrev_b64 v[6:7], 4, v[96:97]
	v_mov_b32_e32 v12, s13
	v_add_co_u32_e32 v14, vcc, s12, v6
	v_addc_co_u32_e32 v15, vcc, v12, v7, vcc
	v_lshlrev_b64 v[12:13], 4, v[4:5]
	v_add_co_u32_e32 v12, vcc, v14, v12
	v_mul_f64 v[8:9], v[8:9], s[0:1]
	v_addc_co_u32_e32 v13, vcc, v15, v13, vcc
	global_store_dwordx4 v[12:13], v[8:11], off
	ds_read_b128 v[4:7], v196 offset:4400
	ds_read_b128 v[8:11], v196 offset:3520
	buffer_load_dword v16, off, s[44:47], 0 ; 4-byte Folded Reload
	buffer_load_dword v17, off, s[44:47], 0 offset:4 ; 4-byte Folded Reload
	buffer_load_dword v18, off, s[44:47], 0 offset:8 ; 4-byte Folded Reload
	;; [unrolled: 1-line block ×3, first 2 shown]
	v_mad_u64_u32 v[24:25], s[2:3], s4, v38, v[12:13]
	s_mul_i32 s2, s5, 0x1130
	v_add_u32_e32 v25, s2, v25
	s_mul_i32 s3, s5, 0xffff9c50
	s_sub_i32 s3, s3, s4
	s_waitcnt vmcnt(0) lgkmcnt(1)
	v_mul_f64 v[14:15], v[18:19], v[6:7]
	v_fmac_f64_e32 v[14:15], v[16:17], v[4:5]
	v_mul_f64 v[4:5], v[18:19], v[4:5]
	v_fma_f64 v[4:5], v[16:17], v[6:7], -v[4:5]
	v_mul_f64 v[14:15], v[14:15], s[0:1]
	v_mul_f64 v[16:17], v[4:5], s[0:1]
	global_store_dwordx4 v[24:25], v[14:17], off
	ds_read_b128 v[4:7], v196 offset:8800
	ds_read_b128 v[16:19], v196 offset:9680
	buffer_load_dword v20, off, s[44:47], 0 offset:16 ; 4-byte Folded Reload
	buffer_load_dword v21, off, s[44:47], 0 offset:20 ; 4-byte Folded Reload
	;; [unrolled: 1-line block ×4, first 2 shown]
	v_mad_u64_u32 v[24:25], s[6:7], s4, v38, v[24:25]
	v_add_u32_e32 v25, s2, v25
	s_waitcnt vmcnt(0) lgkmcnt(1)
	v_mul_f64 v[12:13], v[22:23], v[6:7]
	v_fmac_f64_e32 v[12:13], v[20:21], v[4:5]
	v_mul_f64 v[4:5], v[22:23], v[4:5]
	v_fma_f64 v[4:5], v[20:21], v[6:7], -v[4:5]
	v_mul_f64 v[12:13], v[12:13], s[0:1]
	v_mul_f64 v[14:15], v[4:5], s[0:1]
	global_store_dwordx4 v[24:25], v[12:15], off
	ds_read_b128 v[20:23], v196 offset:13200
	ds_read_b128 v[4:7], v196 offset:12320
	buffer_load_dword v26, off, s[44:47], 0 offset:32 ; 4-byte Folded Reload
	buffer_load_dword v27, off, s[44:47], 0 offset:36 ; 4-byte Folded Reload
	;; [unrolled: 1-line block ×4, first 2 shown]
	s_waitcnt vmcnt(0) lgkmcnt(1)
	v_mul_f64 v[12:13], v[28:29], v[22:23]
	v_mul_f64 v[14:15], v[28:29], v[20:21]
	v_fmac_f64_e32 v[12:13], v[26:27], v[20:21]
	v_fma_f64 v[14:15], v[26:27], v[22:23], -v[14:15]
	v_mad_u64_u32 v[28:29], s[6:7], s4, v38, v[24:25]
	v_mul_f64 v[12:13], v[12:13], s[0:1]
	v_mul_f64 v[14:15], v[14:15], s[0:1]
	v_add_u32_e32 v29, s2, v29
	global_store_dwordx4 v[28:29], v[12:15], off
	ds_read_b128 v[20:23], v196 offset:17600
	ds_read_b128 v[24:27], v196 offset:18480
	buffer_load_dword v30, off, s[44:47], 0 offset:48 ; 4-byte Folded Reload
	buffer_load_dword v31, off, s[44:47], 0 offset:52 ; 4-byte Folded Reload
	;; [unrolled: 1-line block ×4, first 2 shown]
	s_waitcnt vmcnt(0) lgkmcnt(1)
	v_mul_f64 v[12:13], v[32:33], v[22:23]
	v_mul_f64 v[14:15], v[32:33], v[20:21]
	v_fmac_f64_e32 v[12:13], v[30:31], v[20:21]
	v_fma_f64 v[14:15], v[30:31], v[22:23], -v[14:15]
	v_mad_u64_u32 v[32:33], s[6:7], s4, v38, v[28:29]
	v_mul_f64 v[12:13], v[12:13], s[0:1]
	v_mul_f64 v[14:15], v[14:15], s[0:1]
	v_add_u32_e32 v33, s2, v33
	global_store_dwordx4 v[32:33], v[12:15], off
	ds_read_b128 v[20:23], v196 offset:22000
	ds_read_b128 v[12:15], v196 offset:21120
	buffer_load_dword v34, off, s[44:47], 0 offset:64 ; 4-byte Folded Reload
	buffer_load_dword v35, off, s[44:47], 0 offset:68 ; 4-byte Folded Reload
	;; [unrolled: 1-line block ×4, first 2 shown]
	s_waitcnt vmcnt(0) lgkmcnt(1)
	v_mul_f64 v[28:29], v[36:37], v[22:23]
	v_fmac_f64_e32 v[28:29], v[34:35], v[20:21]
	v_mul_f64 v[20:21], v[36:37], v[20:21]
	v_fma_f64 v[20:21], v[34:35], v[22:23], -v[20:21]
	v_mad_u64_u32 v[36:37], s[6:7], s4, v38, v[32:33]
	v_mul_f64 v[28:29], v[28:29], s[0:1]
	v_mul_f64 v[30:31], v[20:21], s[0:1]
	v_add_u32_e32 v37, s2, v37
	global_store_dwordx4 v[36:37], v[28:31], off
	ds_read_b128 v[20:23], v196 offset:26400
	ds_read_b128 v[28:31], v196 offset:27280
	buffer_load_dword v40, off, s[44:47], 0 offset:80 ; 4-byte Folded Reload
	buffer_load_dword v41, off, s[44:47], 0 offset:84 ; 4-byte Folded Reload
	;; [unrolled: 1-line block ×4, first 2 shown]
	v_mad_u64_u32 v[36:37], s[6:7], s4, v38, v[36:37]
	v_add_u32_e32 v37, s2, v37
	s_waitcnt vmcnt(0) lgkmcnt(1)
	v_mul_f64 v[32:33], v[42:43], v[22:23]
	v_fmac_f64_e32 v[32:33], v[40:41], v[20:21]
	v_mul_f64 v[20:21], v[42:43], v[20:21]
	v_fma_f64 v[20:21], v[40:41], v[22:23], -v[20:21]
	v_mul_f64 v[32:33], v[32:33], s[0:1]
	v_mul_f64 v[34:35], v[20:21], s[0:1]
	global_store_dwordx4 v[36:37], v[32:35], off
	buffer_load_dword v32, off, s[44:47], 0 offset:100 ; 4-byte Folded Reload
	s_nop 0
	buffer_load_dword v33, off, s[44:47], 0 offset:104 ; 4-byte Folded Reload
	buffer_load_dword v34, off, s[44:47], 0 offset:108 ; 4-byte Folded Reload
	;; [unrolled: 1-line block ×3, first 2 shown]
	v_mad_u64_u32 v[36:37], s[6:7], s4, v39, v[36:37]
	v_add_u32_e32 v37, s3, v37
	s_waitcnt vmcnt(0)
	v_mul_f64 v[20:21], v[34:35], v[2:3]
	v_fmac_f64_e32 v[20:21], v[32:33], v[0:1]
	v_mul_f64 v[0:1], v[34:35], v[0:1]
	v_fma_f64 v[0:1], v[32:33], v[2:3], -v[0:1]
	v_mul_f64 v[20:21], v[20:21], s[0:1]
	v_mul_f64 v[22:23], v[0:1], s[0:1]
	global_store_dwordx4 v[36:37], v[20:23], off
	ds_read_b128 v[0:3], v196 offset:5280
	ds_read_b128 v[20:23], v196 offset:6160
	buffer_load_dword v40, off, s[44:47], 0 offset:116 ; 4-byte Folded Reload
	buffer_load_dword v41, off, s[44:47], 0 offset:120 ; 4-byte Folded Reload
	buffer_load_dword v42, off, s[44:47], 0 offset:124 ; 4-byte Folded Reload
	buffer_load_dword v43, off, s[44:47], 0 offset:128 ; 4-byte Folded Reload
	v_mad_u64_u32 v[36:37], s[6:7], s4, v38, v[36:37]
	v_add_u32_e32 v37, s2, v37
	s_waitcnt vmcnt(0) lgkmcnt(1)
	v_mul_f64 v[32:33], v[42:43], v[2:3]
	v_fmac_f64_e32 v[32:33], v[40:41], v[0:1]
	v_mul_f64 v[0:1], v[42:43], v[0:1]
	v_fma_f64 v[0:1], v[40:41], v[2:3], -v[0:1]
	v_mul_f64 v[32:33], v[32:33], s[0:1]
	v_mul_f64 v[34:35], v[0:1], s[0:1]
	global_store_dwordx4 v[36:37], v[32:35], off
	buffer_load_dword v32, off, s[44:47], 0 offset:132 ; 4-byte Folded Reload
	s_nop 0
	buffer_load_dword v33, off, s[44:47], 0 offset:136 ; 4-byte Folded Reload
	buffer_load_dword v34, off, s[44:47], 0 offset:140 ; 4-byte Folded Reload
	buffer_load_dword v35, off, s[44:47], 0 offset:144 ; 4-byte Folded Reload
	v_mad_u64_u32 v[36:37], s[6:7], s4, v38, v[36:37]
	v_add_u32_e32 v37, s2, v37
	s_waitcnt vmcnt(0)
	v_mul_f64 v[0:1], v[34:35], v[18:19]
	v_mul_f64 v[2:3], v[34:35], v[16:17]
	v_fmac_f64_e32 v[0:1], v[32:33], v[16:17]
	v_fma_f64 v[2:3], v[32:33], v[18:19], -v[2:3]
	v_mul_f64 v[0:1], v[0:1], s[0:1]
	v_mul_f64 v[2:3], v[2:3], s[0:1]
	global_store_dwordx4 v[36:37], v[0:3], off
	ds_read_b128 v[16:19], v196 offset:14080
	ds_read_b128 v[0:3], v196 offset:14960
	buffer_load_dword v40, off, s[44:47], 0 offset:148 ; 4-byte Folded Reload
	buffer_load_dword v41, off, s[44:47], 0 offset:152 ; 4-byte Folded Reload
	buffer_load_dword v42, off, s[44:47], 0 offset:156 ; 4-byte Folded Reload
	buffer_load_dword v43, off, s[44:47], 0 offset:160 ; 4-byte Folded Reload
	v_mad_u64_u32 v[36:37], s[6:7], s4, v38, v[36:37]
	v_add_u32_e32 v37, s2, v37
	s_waitcnt vmcnt(0) lgkmcnt(1)
	v_mul_f64 v[32:33], v[42:43], v[18:19]
	v_fmac_f64_e32 v[32:33], v[40:41], v[16:17]
	v_mul_f64 v[16:17], v[42:43], v[16:17]
	v_fma_f64 v[16:17], v[40:41], v[18:19], -v[16:17]
	v_mul_f64 v[32:33], v[32:33], s[0:1]
	v_mul_f64 v[34:35], v[16:17], s[0:1]
	global_store_dwordx4 v[36:37], v[32:35], off
	buffer_load_dword v32, off, s[44:47], 0 offset:164 ; 4-byte Folded Reload
	s_nop 0
	buffer_load_dword v33, off, s[44:47], 0 offset:168 ; 4-byte Folded Reload
	buffer_load_dword v34, off, s[44:47], 0 offset:172 ; 4-byte Folded Reload
	buffer_load_dword v35, off, s[44:47], 0 offset:176 ; 4-byte Folded Reload
	v_mad_u64_u32 v[36:37], s[6:7], s4, v38, v[36:37]
	v_add_u32_e32 v37, s2, v37
	s_waitcnt vmcnt(0)
	v_mul_f64 v[16:17], v[34:35], v[26:27]
	v_mul_f64 v[18:19], v[34:35], v[24:25]
	v_fmac_f64_e32 v[16:17], v[32:33], v[24:25]
	;; [unrolled: 31-line block ×3, first 2 shown]
	v_fma_f64 v[26:27], v[32:33], v[30:31], -v[26:27]
	v_mul_f64 v[24:25], v[24:25], s[0:1]
	v_mul_f64 v[26:27], v[26:27], s[0:1]
	global_store_dwordx4 v[36:37], v[24:27], off
	ds_read_b128 v[28:31], v196 offset:1760
	ds_read_b128 v[24:27], v196 offset:2640
	buffer_load_dword v40, off, s[44:47], 0 offset:220 ; 4-byte Folded Reload
	buffer_load_dword v41, off, s[44:47], 0 offset:224 ; 4-byte Folded Reload
	;; [unrolled: 1-line block ×4, first 2 shown]
	v_mad_u64_u32 v[36:37], s[6:7], s4, v39, v[36:37]
	v_add_u32_e32 v37, s3, v37
	s_waitcnt vmcnt(0) lgkmcnt(1)
	v_mul_f64 v[32:33], v[42:43], v[30:31]
	v_fmac_f64_e32 v[32:33], v[40:41], v[28:29]
	v_mul_f64 v[28:29], v[42:43], v[28:29]
	v_fma_f64 v[28:29], v[40:41], v[30:31], -v[28:29]
	v_mul_f64 v[32:33], v[32:33], s[0:1]
	v_mul_f64 v[34:35], v[28:29], s[0:1]
	global_store_dwordx4 v[36:37], v[32:35], off
	buffer_load_dword v30, off, s[44:47], 0 offset:236 ; 4-byte Folded Reload
	s_nop 0
	buffer_load_dword v31, off, s[44:47], 0 offset:240 ; 4-byte Folded Reload
	buffer_load_dword v32, off, s[44:47], 0 offset:244 ; 4-byte Folded Reload
	;; [unrolled: 1-line block ×3, first 2 shown]
	v_mad_u64_u32 v[36:37], s[6:7], s4, v38, v[36:37]
	v_add_u32_e32 v37, s2, v37
	s_waitcnt vmcnt(0)
	v_mul_f64 v[28:29], v[32:33], v[22:23]
	v_fmac_f64_e32 v[28:29], v[30:31], v[20:21]
	v_mul_f64 v[20:21], v[32:33], v[20:21]
	v_fma_f64 v[20:21], v[30:31], v[22:23], -v[20:21]
	v_mul_f64 v[28:29], v[28:29], s[0:1]
	v_mul_f64 v[30:31], v[20:21], s[0:1]
	global_store_dwordx4 v[36:37], v[28:31], off
	ds_read_b128 v[20:23], v196 offset:10560
	ds_read_b128 v[28:31], v196 offset:11440
	buffer_load_dword v40, off, s[44:47], 0 offset:252 ; 4-byte Folded Reload
	buffer_load_dword v41, off, s[44:47], 0 offset:256 ; 4-byte Folded Reload
	;; [unrolled: 1-line block ×4, first 2 shown]
	v_mad_u64_u32 v[36:37], s[6:7], s4, v38, v[36:37]
	v_add_u32_e32 v37, s2, v37
	s_waitcnt vmcnt(0) lgkmcnt(1)
	v_mul_f64 v[32:33], v[42:43], v[22:23]
	v_fmac_f64_e32 v[32:33], v[40:41], v[20:21]
	v_mul_f64 v[20:21], v[42:43], v[20:21]
	v_fma_f64 v[20:21], v[40:41], v[22:23], -v[20:21]
	v_mul_f64 v[32:33], v[32:33], s[0:1]
	v_mul_f64 v[34:35], v[20:21], s[0:1]
	global_store_dwordx4 v[36:37], v[32:35], off
	buffer_load_dword v32, off, s[44:47], 0 offset:268 ; 4-byte Folded Reload
	s_nop 0
	buffer_load_dword v33, off, s[44:47], 0 offset:272 ; 4-byte Folded Reload
	buffer_load_dword v34, off, s[44:47], 0 offset:276 ; 4-byte Folded Reload
	;; [unrolled: 1-line block ×3, first 2 shown]
	v_mad_u64_u32 v[36:37], s[6:7], s4, v38, v[36:37]
	v_add_u32_e32 v37, s2, v37
	s_waitcnt vmcnt(0)
	v_mul_f64 v[20:21], v[34:35], v[2:3]
	v_fmac_f64_e32 v[20:21], v[32:33], v[0:1]
	v_mul_f64 v[0:1], v[34:35], v[0:1]
	v_fma_f64 v[0:1], v[32:33], v[2:3], -v[0:1]
	v_mul_f64 v[20:21], v[20:21], s[0:1]
	v_mul_f64 v[22:23], v[0:1], s[0:1]
	global_store_dwordx4 v[36:37], v[20:23], off
	ds_read_b128 v[0:3], v196 offset:19360
	ds_read_b128 v[20:23], v196 offset:20240
	buffer_load_dword v40, off, s[44:47], 0 offset:300 ; 4-byte Folded Reload
	buffer_load_dword v41, off, s[44:47], 0 offset:304 ; 4-byte Folded Reload
	buffer_load_dword v42, off, s[44:47], 0 offset:308 ; 4-byte Folded Reload
	buffer_load_dword v43, off, s[44:47], 0 offset:312 ; 4-byte Folded Reload
	v_mad_u64_u32 v[36:37], s[6:7], s4, v38, v[36:37]
	v_add_u32_e32 v37, s2, v37
	s_waitcnt vmcnt(0) lgkmcnt(1)
	v_mul_f64 v[32:33], v[42:43], v[2:3]
	v_fmac_f64_e32 v[32:33], v[40:41], v[0:1]
	v_mul_f64 v[0:1], v[42:43], v[0:1]
	v_fma_f64 v[0:1], v[40:41], v[2:3], -v[0:1]
	v_mul_f64 v[32:33], v[32:33], s[0:1]
	v_mul_f64 v[34:35], v[0:1], s[0:1]
	global_store_dwordx4 v[36:37], v[32:35], off
	buffer_load_dword v32, off, s[44:47], 0 offset:316 ; 4-byte Folded Reload
	s_nop 0
	buffer_load_dword v33, off, s[44:47], 0 offset:320 ; 4-byte Folded Reload
	buffer_load_dword v34, off, s[44:47], 0 offset:324 ; 4-byte Folded Reload
	buffer_load_dword v35, off, s[44:47], 0 offset:328 ; 4-byte Folded Reload
	v_mad_u64_u32 v[36:37], s[6:7], s4, v38, v[36:37]
	v_add_u32_e32 v37, s2, v37
	s_waitcnt vmcnt(0)
	v_mul_f64 v[0:1], v[34:35], v[18:19]
	v_mul_f64 v[2:3], v[34:35], v[16:17]
	v_fmac_f64_e32 v[0:1], v[32:33], v[16:17]
	v_fma_f64 v[2:3], v[32:33], v[18:19], -v[2:3]
	v_mul_f64 v[0:1], v[0:1], s[0:1]
	v_mul_f64 v[2:3], v[2:3], s[0:1]
	global_store_dwordx4 v[36:37], v[0:3], off
	ds_read_b128 v[16:19], v196 offset:28160
	ds_read_b128 v[0:3], v196 offset:29040
	buffer_load_dword v40, off, s[44:47], 0 offset:332 ; 4-byte Folded Reload
	buffer_load_dword v41, off, s[44:47], 0 offset:336 ; 4-byte Folded Reload
	buffer_load_dword v42, off, s[44:47], 0 offset:340 ; 4-byte Folded Reload
	buffer_load_dword v43, off, s[44:47], 0 offset:344 ; 4-byte Folded Reload
	v_mad_u64_u32 v[36:37], s[6:7], s4, v38, v[36:37]
	v_add_u32_e32 v37, s2, v37
	s_waitcnt vmcnt(0) lgkmcnt(1)
	v_mul_f64 v[32:33], v[42:43], v[18:19]
	v_fmac_f64_e32 v[32:33], v[40:41], v[16:17]
	v_mul_f64 v[16:17], v[42:43], v[16:17]
	v_fma_f64 v[16:17], v[40:41], v[18:19], -v[16:17]
	v_mul_f64 v[32:33], v[32:33], s[0:1]
	v_mul_f64 v[34:35], v[16:17], s[0:1]
	global_store_dwordx4 v[36:37], v[32:35], off
	buffer_load_dword v32, off, s[44:47], 0 offset:364 ; 4-byte Folded Reload
	s_nop 0
	buffer_load_dword v33, off, s[44:47], 0 offset:368 ; 4-byte Folded Reload
	buffer_load_dword v34, off, s[44:47], 0 offset:372 ; 4-byte Folded Reload
	buffer_load_dword v35, off, s[44:47], 0 offset:376 ; 4-byte Folded Reload
	v_mad_u64_u32 v[36:37], s[6:7], s4, v39, v[36:37]
	v_add_u32_e32 v37, s3, v37
	s_waitcnt vmcnt(0)
	v_mul_f64 v[16:17], v[34:35], v[26:27]
	v_mul_f64 v[18:19], v[34:35], v[24:25]
	v_fmac_f64_e32 v[16:17], v[32:33], v[24:25]
	;; [unrolled: 31-line block ×3, first 2 shown]
	v_fma_f64 v[26:27], v[32:33], v[30:31], -v[26:27]
	v_mul_f64 v[24:25], v[24:25], s[0:1]
	v_mul_f64 v[26:27], v[26:27], s[0:1]
	global_store_dwordx4 v[36:37], v[24:27], off
	ds_read_b128 v[28:31], v196 offset:15840
	ds_read_b128 v[24:27], v196 offset:16720
	buffer_load_dword v40, off, s[44:47], 0 offset:428 ; 4-byte Folded Reload
	buffer_load_dword v41, off, s[44:47], 0 offset:432 ; 4-byte Folded Reload
	;; [unrolled: 1-line block ×4, first 2 shown]
	v_mad_u64_u32 v[36:37], s[6:7], s4, v38, v[36:37]
	v_add_u32_e32 v37, s2, v37
	s_waitcnt vmcnt(0) lgkmcnt(1)
	v_mul_f64 v[32:33], v[42:43], v[30:31]
	v_fmac_f64_e32 v[32:33], v[40:41], v[28:29]
	v_mul_f64 v[28:29], v[42:43], v[28:29]
	v_fma_f64 v[28:29], v[40:41], v[30:31], -v[28:29]
	v_mul_f64 v[32:33], v[32:33], s[0:1]
	v_mul_f64 v[34:35], v[28:29], s[0:1]
	global_store_dwordx4 v[36:37], v[32:35], off
	buffer_load_dword v30, off, s[44:47], 0 offset:460 ; 4-byte Folded Reload
	s_nop 0
	buffer_load_dword v31, off, s[44:47], 0 offset:464 ; 4-byte Folded Reload
	buffer_load_dword v32, off, s[44:47], 0 offset:468 ; 4-byte Folded Reload
	;; [unrolled: 1-line block ×3, first 2 shown]
	v_mad_u64_u32 v[36:37], s[6:7], s4, v38, v[36:37]
	v_add_u32_e32 v37, s2, v37
	s_waitcnt vmcnt(0)
	v_mul_f64 v[28:29], v[32:33], v[22:23]
	v_fmac_f64_e32 v[28:29], v[30:31], v[20:21]
	v_mul_f64 v[20:21], v[32:33], v[20:21]
	v_fma_f64 v[20:21], v[30:31], v[22:23], -v[20:21]
	v_mul_f64 v[28:29], v[28:29], s[0:1]
	v_mul_f64 v[30:31], v[20:21], s[0:1]
	global_store_dwordx4 v[36:37], v[28:31], off
	ds_read_b128 v[20:23], v196 offset:24640
	ds_read_b128 v[28:31], v196 offset:25520
	buffer_load_dword v40, off, s[44:47], 0 offset:348 ; 4-byte Folded Reload
	buffer_load_dword v41, off, s[44:47], 0 offset:352 ; 4-byte Folded Reload
	;; [unrolled: 1-line block ×4, first 2 shown]
	v_mad_u64_u32 v[36:37], s[6:7], s4, v38, v[36:37]
	v_add_u32_e32 v37, s2, v37
	s_waitcnt vmcnt(0) lgkmcnt(1)
	v_mul_f64 v[32:33], v[42:43], v[22:23]
	v_fmac_f64_e32 v[32:33], v[40:41], v[20:21]
	v_mul_f64 v[20:21], v[42:43], v[20:21]
	v_fma_f64 v[20:21], v[40:41], v[22:23], -v[20:21]
	v_mul_f64 v[32:33], v[32:33], s[0:1]
	v_mul_f64 v[34:35], v[20:21], s[0:1]
	global_store_dwordx4 v[36:37], v[32:35], off
	buffer_load_dword v32, off, s[44:47], 0 offset:396 ; 4-byte Folded Reload
	s_nop 0
	buffer_load_dword v33, off, s[44:47], 0 offset:400 ; 4-byte Folded Reload
	buffer_load_dword v34, off, s[44:47], 0 offset:404 ; 4-byte Folded Reload
	;; [unrolled: 1-line block ×3, first 2 shown]
	s_waitcnt vmcnt(0)
	v_mul_f64 v[20:21], v[34:35], v[2:3]
	v_fmac_f64_e32 v[20:21], v[32:33], v[0:1]
	v_mul_f64 v[0:1], v[34:35], v[0:1]
	v_fma_f64 v[0:1], v[32:33], v[2:3], -v[0:1]
	v_mad_u64_u32 v[32:33], s[6:7], s4, v38, v[36:37]
	v_mul_f64 v[20:21], v[20:21], s[0:1]
	v_mul_f64 v[22:23], v[0:1], s[0:1]
	v_add_u32_e32 v33, s2, v33
	global_store_dwordx4 v[32:33], v[20:23], off
	buffer_load_dword v20, off, s[44:47], 0 offset:444 ; 4-byte Folded Reload
	s_nop 0
	buffer_load_dword v21, off, s[44:47], 0 offset:448 ; 4-byte Folded Reload
	buffer_load_dword v22, off, s[44:47], 0 offset:452 ; 4-byte Folded Reload
	;; [unrolled: 1-line block ×3, first 2 shown]
	s_waitcnt vmcnt(0)
	v_mul_f64 v[0:1], v[22:23], v[10:11]
	v_mul_f64 v[2:3], v[22:23], v[8:9]
	v_fmac_f64_e32 v[0:1], v[20:21], v[8:9]
	v_fma_f64 v[2:3], v[20:21], v[10:11], -v[2:3]
	v_mad_u64_u32 v[8:9], s[6:7], s4, v39, v[32:33]
	v_mul_f64 v[0:1], v[0:1], s[0:1]
	v_mul_f64 v[2:3], v[2:3], s[0:1]
	v_add_u32_e32 v9, s3, v9
	global_store_dwordx4 v[8:9], v[0:3], off
	buffer_load_dword v20, off, s[44:47], 0 offset:476 ; 4-byte Folded Reload
	buffer_load_dword v21, off, s[44:47], 0 offset:480 ; 4-byte Folded Reload
	;; [unrolled: 1-line block ×4, first 2 shown]
	v_mad_u64_u32 v[8:9], s[6:7], s4, v38, v[8:9]
	v_add_u32_e32 v9, s2, v9
	s_waitcnt vmcnt(0)
	v_mul_f64 v[0:1], v[22:23], v[18:19]
	v_mul_f64 v[2:3], v[22:23], v[16:17]
	v_fmac_f64_e32 v[0:1], v[20:21], v[16:17]
	v_fma_f64 v[2:3], v[20:21], v[18:19], -v[2:3]
	v_mul_f64 v[0:1], v[0:1], s[0:1]
	v_mul_f64 v[2:3], v[2:3], s[0:1]
	global_store_dwordx4 v[8:9], v[0:3], off
	buffer_load_dword v16, off, s[44:47], 0 offset:492 ; 4-byte Folded Reload
	buffer_load_dword v17, off, s[44:47], 0 offset:496 ; 4-byte Folded Reload
	;; [unrolled: 1-line block ×4, first 2 shown]
	s_waitcnt vmcnt(0)
	v_mul_f64 v[0:1], v[18:19], v[6:7]
	v_mul_f64 v[2:3], v[18:19], v[4:5]
	v_fmac_f64_e32 v[0:1], v[16:17], v[4:5]
	v_fma_f64 v[2:3], v[16:17], v[6:7], -v[2:3]
	v_mad_u64_u32 v[4:5], s[6:7], s4, v38, v[8:9]
	v_mul_f64 v[0:1], v[0:1], s[0:1]
	v_mul_f64 v[2:3], v[2:3], s[0:1]
	v_add_u32_e32 v5, s2, v5
	global_store_dwordx4 v[4:5], v[0:3], off
	buffer_load_dword v6, off, s[44:47], 0 offset:508 ; 4-byte Folded Reload
	buffer_load_dword v7, off, s[44:47], 0 offset:512 ; 4-byte Folded Reload
	;; [unrolled: 1-line block ×4, first 2 shown]
	v_mad_u64_u32 v[4:5], s[6:7], s4, v38, v[4:5]
	v_add_u32_e32 v5, s2, v5
	s_waitcnt vmcnt(0)
	v_mul_f64 v[0:1], v[8:9], v[26:27]
	v_mul_f64 v[2:3], v[8:9], v[24:25]
	v_fmac_f64_e32 v[0:1], v[6:7], v[24:25]
	v_fma_f64 v[2:3], v[6:7], v[26:27], -v[2:3]
	v_mul_f64 v[0:1], v[0:1], s[0:1]
	v_mul_f64 v[2:3], v[2:3], s[0:1]
	global_store_dwordx4 v[4:5], v[0:3], off
	buffer_load_dword v6, off, s[44:47], 0 offset:524 ; 4-byte Folded Reload
	buffer_load_dword v7, off, s[44:47], 0 offset:528 ; 4-byte Folded Reload
	buffer_load_dword v8, off, s[44:47], 0 offset:532 ; 4-byte Folded Reload
	buffer_load_dword v9, off, s[44:47], 0 offset:536 ; 4-byte Folded Reload
	s_waitcnt vmcnt(0)
	v_mul_f64 v[0:1], v[8:9], v[14:15]
	v_mul_f64 v[2:3], v[8:9], v[12:13]
	v_fmac_f64_e32 v[0:1], v[6:7], v[12:13]
	v_fma_f64 v[2:3], v[6:7], v[14:15], -v[2:3]
	v_mad_u64_u32 v[8:9], s[6:7], s4, v38, v[4:5]
	v_mul_f64 v[0:1], v[0:1], s[0:1]
	v_mul_f64 v[2:3], v[2:3], s[0:1]
	v_add_u32_e32 v9, s2, v9
	global_store_dwordx4 v[8:9], v[0:3], off
	buffer_load_dword v4, off, s[44:47], 0 offset:540 ; 4-byte Folded Reload
	buffer_load_dword v5, off, s[44:47], 0 offset:544 ; 4-byte Folded Reload
	;; [unrolled: 1-line block ×4, first 2 shown]
	v_mad_u64_u32 v[8:9], s[6:7], s4, v38, v[8:9]
	v_add_u32_e32 v9, s2, v9
	s_waitcnt vmcnt(0) lgkmcnt(0)
	v_mul_f64 v[0:1], v[6:7], v[30:31]
	v_mul_f64 v[2:3], v[6:7], v[28:29]
	v_fmac_f64_e32 v[0:1], v[4:5], v[28:29]
	v_fma_f64 v[2:3], v[4:5], v[30:31], -v[2:3]
	v_mul_f64 v[0:1], v[0:1], s[0:1]
	v_mul_f64 v[2:3], v[2:3], s[0:1]
	global_store_dwordx4 v[8:9], v[0:3], off
	ds_read_b128 v[4:7], v196 offset:29920
	buffer_load_dword v10, off, s[44:47], 0 offset:556 ; 4-byte Folded Reload
	buffer_load_dword v11, off, s[44:47], 0 offset:560 ; 4-byte Folded Reload
	;; [unrolled: 1-line block ×4, first 2 shown]
	s_waitcnt vmcnt(0) lgkmcnt(0)
	v_mul_f64 v[0:1], v[12:13], v[6:7]
	v_mul_f64 v[2:3], v[12:13], v[4:5]
	v_fmac_f64_e32 v[0:1], v[10:11], v[4:5]
	v_fma_f64 v[2:3], v[10:11], v[6:7], -v[2:3]
	v_mul_f64 v[0:1], v[0:1], s[0:1]
	v_mul_f64 v[2:3], v[2:3], s[0:1]
	v_mad_u64_u32 v[4:5], s[0:1], s4, v38, v[8:9]
	v_add_u32_e32 v5, s2, v5
	global_store_dwordx4 v[4:5], v[0:3], off
.LBB0_10:
	s_endpgm
	.section	.rodata,"a",@progbits
	.p2align	6, 0x0
	.amdhsa_kernel bluestein_single_fwd_len1925_dim1_dp_op_CI_CI
		.amdhsa_group_segment_fixed_size 30800
		.amdhsa_private_segment_fixed_size 1040
		.amdhsa_kernarg_size 104
		.amdhsa_user_sgpr_count 6
		.amdhsa_user_sgpr_private_segment_buffer 1
		.amdhsa_user_sgpr_dispatch_ptr 0
		.amdhsa_user_sgpr_queue_ptr 0
		.amdhsa_user_sgpr_kernarg_segment_ptr 1
		.amdhsa_user_sgpr_dispatch_id 0
		.amdhsa_user_sgpr_flat_scratch_init 0
		.amdhsa_user_sgpr_kernarg_preload_length 0
		.amdhsa_user_sgpr_kernarg_preload_offset 0
		.amdhsa_user_sgpr_private_segment_size 0
		.amdhsa_uses_dynamic_stack 0
		.amdhsa_system_sgpr_private_segment_wavefront_offset 1
		.amdhsa_system_sgpr_workgroup_id_x 1
		.amdhsa_system_sgpr_workgroup_id_y 0
		.amdhsa_system_sgpr_workgroup_id_z 0
		.amdhsa_system_sgpr_workgroup_info 0
		.amdhsa_system_vgpr_workitem_id 0
		.amdhsa_next_free_vgpr 512
		.amdhsa_next_free_sgpr 48
		.amdhsa_accum_offset 256
		.amdhsa_reserve_vcc 1
		.amdhsa_reserve_flat_scratch 0
		.amdhsa_float_round_mode_32 0
		.amdhsa_float_round_mode_16_64 0
		.amdhsa_float_denorm_mode_32 3
		.amdhsa_float_denorm_mode_16_64 3
		.amdhsa_dx10_clamp 1
		.amdhsa_ieee_mode 1
		.amdhsa_fp16_overflow 0
		.amdhsa_tg_split 0
		.amdhsa_exception_fp_ieee_invalid_op 0
		.amdhsa_exception_fp_denorm_src 0
		.amdhsa_exception_fp_ieee_div_zero 0
		.amdhsa_exception_fp_ieee_overflow 0
		.amdhsa_exception_fp_ieee_underflow 0
		.amdhsa_exception_fp_ieee_inexact 0
		.amdhsa_exception_int_div_zero 0
	.end_amdhsa_kernel
	.text
.Lfunc_end0:
	.size	bluestein_single_fwd_len1925_dim1_dp_op_CI_CI, .Lfunc_end0-bluestein_single_fwd_len1925_dim1_dp_op_CI_CI
                                        ; -- End function
	.section	.AMDGPU.csdata,"",@progbits
; Kernel info:
; codeLenInByte = 64380
; NumSgprs: 52
; NumVgprs: 256
; NumAgprs: 256
; TotalNumVgprs: 512
; ScratchSize: 1040
; MemoryBound: 0
; FloatMode: 240
; IeeeMode: 1
; LDSByteSize: 30800 bytes/workgroup (compile time only)
; SGPRBlocks: 6
; VGPRBlocks: 63
; NumSGPRsForWavesPerEU: 52
; NumVGPRsForWavesPerEU: 512
; AccumOffset: 256
; Occupancy: 1
; WaveLimiterHint : 1
; COMPUTE_PGM_RSRC2:SCRATCH_EN: 1
; COMPUTE_PGM_RSRC2:USER_SGPR: 6
; COMPUTE_PGM_RSRC2:TRAP_HANDLER: 0
; COMPUTE_PGM_RSRC2:TGID_X_EN: 1
; COMPUTE_PGM_RSRC2:TGID_Y_EN: 0
; COMPUTE_PGM_RSRC2:TGID_Z_EN: 0
; COMPUTE_PGM_RSRC2:TIDIG_COMP_CNT: 0
; COMPUTE_PGM_RSRC3_GFX90A:ACCUM_OFFSET: 63
; COMPUTE_PGM_RSRC3_GFX90A:TG_SPLIT: 0
	.text
	.p2alignl 6, 3212836864
	.fill 256, 4, 3212836864
	.type	__hip_cuid_70e9634fa0e78c7a,@object ; @__hip_cuid_70e9634fa0e78c7a
	.section	.bss,"aw",@nobits
	.globl	__hip_cuid_70e9634fa0e78c7a
__hip_cuid_70e9634fa0e78c7a:
	.byte	0                               ; 0x0
	.size	__hip_cuid_70e9634fa0e78c7a, 1

	.ident	"AMD clang version 19.0.0git (https://github.com/RadeonOpenCompute/llvm-project roc-6.4.0 25133 c7fe45cf4b819c5991fe208aaa96edf142730f1d)"
	.section	".note.GNU-stack","",@progbits
	.addrsig
	.addrsig_sym __hip_cuid_70e9634fa0e78c7a
	.amdgpu_metadata
---
amdhsa.kernels:
  - .agpr_count:     256
    .args:
      - .actual_access:  read_only
        .address_space:  global
        .offset:         0
        .size:           8
        .value_kind:     global_buffer
      - .actual_access:  read_only
        .address_space:  global
        .offset:         8
        .size:           8
        .value_kind:     global_buffer
      - .actual_access:  read_only
        .address_space:  global
        .offset:         16
        .size:           8
        .value_kind:     global_buffer
      - .actual_access:  read_only
        .address_space:  global
        .offset:         24
        .size:           8
        .value_kind:     global_buffer
      - .actual_access:  read_only
        .address_space:  global
        .offset:         32
        .size:           8
        .value_kind:     global_buffer
      - .offset:         40
        .size:           8
        .value_kind:     by_value
      - .address_space:  global
        .offset:         48
        .size:           8
        .value_kind:     global_buffer
      - .address_space:  global
        .offset:         56
        .size:           8
        .value_kind:     global_buffer
      - .address_space:  global
        .offset:         64
        .size:           8
        .value_kind:     global_buffer
      - .address_space:  global
        .offset:         72
        .size:           8
        .value_kind:     global_buffer
      - .offset:         80
        .size:           4
        .value_kind:     by_value
      - .address_space:  global
        .offset:         88
        .size:           8
        .value_kind:     global_buffer
      - .address_space:  global
        .offset:         96
        .size:           8
        .value_kind:     global_buffer
    .group_segment_fixed_size: 30800
    .kernarg_segment_align: 8
    .kernarg_segment_size: 104
    .language:       OpenCL C
    .language_version:
      - 2
      - 0
    .max_flat_workgroup_size: 55
    .name:           bluestein_single_fwd_len1925_dim1_dp_op_CI_CI
    .private_segment_fixed_size: 1040
    .sgpr_count:     52
    .sgpr_spill_count: 0
    .symbol:         bluestein_single_fwd_len1925_dim1_dp_op_CI_CI.kd
    .uniform_work_group_size: 1
    .uses_dynamic_stack: false
    .vgpr_count:     512
    .vgpr_spill_count: 259
    .wavefront_size: 64
amdhsa.target:   amdgcn-amd-amdhsa--gfx90a
amdhsa.version:
  - 1
  - 2
...

	.end_amdgpu_metadata
